;; amdgpu-corpus repo=ROCm/aiter kind=harvested arch=n/a opt=n/a

/root/src/amdgpu-assembly/repos/ROCm__aiter/hsa/gfx950/fmha_v3_bwd/bwd_hd64_fp16_causal_a16.co:	file format elf64-amdgpu

Disassembly of section .text:

0000000000004000 <_ZN5aiter39fmha_bwd_hd64_fp16_causal_a16_recompileE>:
	s_and_b32 s1, s1, 0xffff                                   // 000000004000: 8601FF01 0000FFFF
	s_load_dwordx2 s[32:33], s[0:1], 0x0                       // 000000004008: C0060800 00000000
	s_load_dwordx2 s[36:37], s[0:1], 0x10                      // 000000004010: C0060900 00000010
	s_load_dwordx2 s[40:41], s[0:1], 0x20                      // 000000004018: C0060A00 00000020
	s_load_dwordx2 s[8:9], s[0:1], 0x30                        // 000000004020: C0060200 00000030
	s_load_dwordx2 s[12:13], s[0:1], 0x40                      // 000000004028: C0060300 00000040
	s_load_dwordx2 s[16:17], s[0:1], 0x50                      // 000000004030: C0060400 00000050
	s_load_dwordx2 s[20:21], s[0:1], 0x60                      // 000000004038: C0060500 00000060
	s_load_dwordx2 s[24:25], s[0:1], 0x70                      // 000000004040: C0060600 00000070
	s_load_dwordx2 s[28:29], s[0:1], 0x80                      // 000000004048: C0060700 00000080
	s_load_dword s48, s[0:1], 0x90                             // 000000004050: C0020C00 00000090
	s_load_dword s49, s[0:1], 0xa0                             // 000000004058: C0020C40 000000A0
	s_load_dword s50, s[0:1], 0xb0                             // 000000004060: C0020C80 000000B0
	s_load_dword s51, s[0:1], 0xc0                             // 000000004068: C0020CC0 000000C0
	s_load_dword s52, s[0:1], 0xd0                             // 000000004070: C0020D00 000000D0
	s_load_dword s53, s[0:1], 0xe0                             // 000000004078: C0020D40 000000E0
	s_load_dword s70, s[0:1], 0xf0                             // 000000004080: C0021180 000000F0
	s_load_dword s44, s[0:1], 0x100                            // 000000004088: C0020B00 00000100
	s_load_dword s5, s[0:1], 0x110                             // 000000004090: C0020140 00000110
	s_load_dword s6, s[0:1], 0x120                             // 000000004098: C0020180 00000120
	s_load_dword s7, s[0:1], 0x130                             // 0000000040A0: C00201C0 00000130
	s_load_dword s46, s[0:1], 0x140                            // 0000000040A8: C0020B80 00000140
	s_load_dword s91, s[0:1], 0x180                            // 0000000040B0: C00216C0 00000180
	s_load_dword s90, s[0:1], 0x240                            // 0000000040B8: C0021680 00000240
	v_lshrrev_b32_e32 v1, 10, v0                               // 0000000040C0: 2002008A
	v_lshrrev_b32_e32 v2, 10, v1                               // 0000000040C4: 2004028A
	v_and_b32_e32 v2, 0x3ff, v2                                // 0000000040C8: 260404FF 000003FF
	v_and_b32_e32 v1, 0x3ff, v1                                // 0000000040D0: 260202FF 000003FF
	v_and_b32_e32 v0, 0x3ff, v0                                // 0000000040D8: 260000FF 000003FF
	v_lshrrev_b32_e32 v3, 6, v0                                // 0000000040E0: 20060086
	v_and_b32_e32 v0, 63, v0                                   // 0000000040E4: 260000BF
	s_mov_b32 s2, s2                                           // 0000000040E8: BE820002
	s_mov_b32 s3, s3                                           // 0000000040EC: BE830003
	s_mov_b32 s4, s4                                           // 0000000040F0: BE840004
	v_readfirstlane_b32 s47, v3                                // 0000000040F4: 7E5E0503
	s_waitcnt lgkmcnt(0)                                       // 0000000040F8: BF8CC07F
	s_mov_b32 s10, 0x80000000                                  // 0000000040FC: BE8A00FF 80000000
	s_mov_b32 s14, 0x80000000                                  // 000000004104: BE8E00FF 80000000
	s_mov_b32 s18, 0x80000000                                  // 00000000410C: BE9200FF 80000000
	s_mov_b32 s22, 0x80000000                                  // 000000004114: BE9600FF 80000000
	s_mov_b32 s26, 0x80000000                                  // 00000000411C: BE9A00FF 80000000
	s_mov_b32 s30, 0x80000000                                  // 000000004124: BE9E00FF 80000000
	s_mov_b32 s34, 0x80000000                                  // 00000000412C: BEA200FF 80000000
	s_mov_b32 s38, 0x80000000                                  // 000000004134: BEA600FF 80000000
	s_mov_b32 s42, 0x80000000                                  // 00000000413C: BEAA00FF 80000000
	s_mov_b32 s11, 0x20000                                     // 000000004144: BE8B00FF 00020000
	s_mov_b32 s15, 0x20000                                     // 00000000414C: BE8F00FF 00020000
	s_mov_b32 s19, 0x20000                                     // 000000004154: BE9300FF 00020000
	s_mov_b32 s23, 0x20000                                     // 00000000415C: BE9700FF 00020000
	s_mov_b32 s27, 0x20000                                     // 000000004164: BE9B00FF 00020000
	s_mov_b32 s31, 0x20000                                     // 00000000416C: BE9F00FF 00020000
	s_mov_b32 s35, 0x20000                                     // 000000004174: BEA300FF 00020000
	s_mov_b32 s39, 0x20000                                     // 00000000417C: BEA700FF 00020000
	s_mov_b32 s43, 0x20000                                     // 000000004184: BEAB00FF 00020000
	s_and_b32 s9, s9, 0xffff                                   // 00000000418C: 8609FF09 0000FFFF
	s_and_b32 s13, s13, 0xffff                                 // 000000004194: 860DFF0D 0000FFFF
	s_and_b32 s17, s17, 0xffff                                 // 00000000419C: 8611FF11 0000FFFF
	s_and_b32 s21, s21, 0xffff                                 // 0000000041A4: 8615FF15 0000FFFF
	s_and_b32 s25, s25, 0xffff                                 // 0000000041AC: 8619FF19 0000FFFF
	s_and_b32 s29, s29, 0xffff                                 // 0000000041B4: 861DFF1D 0000FFFF
	s_and_b32 s33, s33, 0xffff                                 // 0000000041BC: 8621FF21 0000FFFF
	s_and_b32 s37, s37, 0xffff                                 // 0000000041C4: 8625FF25 0000FFFF
	s_and_b32 s41, s41, 0xffff                                 // 0000000041CC: 8629FF29 0000FFFF
	s_or_b32 s9, s9, 0x40000                                   // 0000000041D4: 8709FF09 00040000
	s_or_b32 s13, s13, 0x40000                                 // 0000000041DC: 870DFF0D 00040000
	s_or_b32 s17, s17, 0x40000                                 // 0000000041E4: 8711FF11 00040000
	s_or_b32 s21, s21, 0x40000                                 // 0000000041EC: 8715FF15 00040000
	s_or_b32 s25, s25, 0x40000                                 // 0000000041F4: 8719FF19 00040000
	s_or_b32 s29, s29, 0x40000                                 // 0000000041FC: 871DFF1D 00040000
	s_or_b32 s33, s33, 0x40000                                 // 000000004204: 8721FF21 00040000
	s_or_b32 s37, s37, 0x40000                                 // 00000000420C: 8725FF25 00040000
	s_or_b32 s41, s41, 0x40000                                 // 000000004214: 8729FF29 00040000
	v_accvgpr_write_b32 a159, 0                                // 00000000421C: D3D9409F 18000080
	v_mov_b32_e32 v227, 0                                      // 000000004224: 7FC60280
	s_mov_b32 s80, s8                                          // 000000004228: BED00008
	s_mov_b32 s82, s12                                         // 00000000422C: BED2000C
	s_mov_b32 s84, s16                                         // 000000004230: BED40010
	s_mov_b32 s86, s20                                         // 000000004234: BED60014
	s_mov_b32 s88, s32                                         // 000000004238: BED80020
	s_mov_b32 s81, s9                                          // 00000000423C: BED10009
	s_mov_b32 s83, s13                                         // 000000004240: BED3000D
	s_mov_b32 s85, s17                                         // 000000004244: BED50011
	s_mov_b32 s87, s21                                         // 000000004248: BED70015
	s_mov_b32 s89, s33                                         // 00000000424C: BED90021
	s_mov_b32 s71, s3                                          // 000000004250: BEC70003
	v_cvt_f32_u32_e32 v32, s44                                 // 000000004254: 7E400C2C
	s_sub_i32 s60, 0, s44                                      // 000000004258: 81BC2C80
	v_rcp_iflag_f32_e32 v32, v32                               // 00000000425C: 7E404720
	s_nop 0                                                    // 000000004260: BF800000
	v_mul_f32_e32 v32, 0x4f7ffffe, v32                         // 000000004264: 0A4040FF 4F7FFFFE
	v_cvt_u32_f32_e32 v32, v32                                 // 00000000426C: 7E400F20
	v_mul_lo_u32 v33, s60, v32                                 // 000000004270: D2850021 0002403C
	v_mul_hi_u32 v33, v32, v33                                 // 000000004278: D2860021 00024320
	v_add_u32_e32 v32, v32, v33                                // 000000004280: 68404320
	v_mul_hi_u32 v32, s71, v32                                 // 000000004284: D2860020 00024047
	v_mul_lo_u32 v33, v32, s44                                 // 00000000428C: D2850021 00005920
	v_sub_u32_e32 v35, s71, v33                                // 000000004294: 6A464247
	v_add_u32_e32 v34, 1, v32                                  // 000000004298: 68444081
	v_cmp_le_u32_e32 vcc, s44, v35                             // 00000000429C: 7D96462C
	v_subrev_u32_e32 v33, s44, v35                             // 0000000042A0: 6C42462C
	s_nop 0                                                    // 0000000042A4: BF800000
	v_cndmask_b32_e32 v32, v32, v34, vcc                       // 0000000042A8: 00404520
	v_cndmask_b32_e32 v35, v35, v33, vcc                       // 0000000042AC: 00464323
	v_add_u32_e32 v33, 1, v32                                  // 0000000042B0: 68424081
	v_cmp_le_u32_e32 vcc, s44, v35                             // 0000000042B4: 7D96462C
	s_nop 1                                                    // 0000000042B8: BF800001
	v_cndmask_b32_e32 v35, v32, v33, vcc                       // 0000000042BC: 00464320
	s_nop 3                                                    // 0000000042C0: BF800003
	v_readfirstlane_b32 s45, v35                               // 0000000042C4: 7E5A0523
	s_nop 3                                                    // 0000000042C8: BF800003
	s_add_u32 s71, 0x80, s50                                   // 0000000042CC: 804732FF 00000080
	s_mov_b32 s74, 0xc0                                        // 0000000042D4: BECA00FF 000000C0
	v_cvt_f32_u32_e32 v32, s74                                 // 0000000042DC: 7E400C4A
	s_sub_i32 s60, 0, s74                                      // 0000000042E0: 81BC4A80
	v_rcp_iflag_f32_e32 v32, v32                               // 0000000042E4: 7E404720
	s_nop 0                                                    // 0000000042E8: BF800000
	v_mul_f32_e32 v32, 0x4f7ffffe, v32                         // 0000000042EC: 0A4040FF 4F7FFFFE
	v_cvt_u32_f32_e32 v32, v32                                 // 0000000042F4: 7E400F20
	v_mul_lo_u32 v33, s60, v32                                 // 0000000042F8: D2850021 0002403C
	v_mul_hi_u32 v33, v32, v33                                 // 000000004300: D2860021 00024320
	v_add_u32_e32 v32, v32, v33                                // 000000004308: 68404320
	v_mul_hi_u32 v32, s71, v32                                 // 00000000430C: D2860020 00024047
	v_mul_lo_u32 v33, v32, s74                                 // 000000004314: D2850021 00009520
	v_sub_u32_e32 v35, s71, v33                                // 00000000431C: 6A464247
	v_add_u32_e32 v34, 1, v32                                  // 000000004320: 68444081
	v_cmp_le_u32_e32 vcc, s74, v35                             // 000000004324: 7D96464A
	v_subrev_u32_e32 v33, s74, v35                             // 000000004328: 6C42464A
	s_nop 0                                                    // 00000000432C: BF800000
	v_cndmask_b32_e32 v32, v32, v34, vcc                       // 000000004330: 00404520
	v_cndmask_b32_e32 v35, v35, v33, vcc                       // 000000004334: 00464323
	v_add_u32_e32 v33, 1, v32                                  // 000000004338: 68424081
	v_cmp_le_u32_e32 vcc, s74, v35                             // 00000000433C: 7D96464A
	s_nop 1                                                    // 000000004340: BF800001
	v_cndmask_b32_e32 v35, v32, v33, vcc                       // 000000004344: 00464320
	s_nop 3                                                    // 000000004348: BF800003
	v_readfirstlane_b32 s77, v35                               // 00000000434C: 7E9A0523
	s_nop 3                                                    // 000000004350: BF800003
	v_mov_b32_e32 v32, s48                                     // 000000004354: 7E400230
	v_mul_f32_e32 v32, s49, v32                                // 000000004358: 0A404031
	s_mov_b32 s66, 0                                           // 00000000435C: BEC20080
	s_mov_b32 s58, s50                                         // 000000004360: BEBA0032
	s_mov_b32 s59, 0                                           // 000000004364: BEBB0080
	s_mov_b32 s63, 0x5040100                                   // 000000004368: BEBF00FF 05040100
	s_mov_b32 s64, 0x7060302                                   // 000000004370: BEC000FF 07060302
	v_readfirstlane_b32 s57, v32                               // 000000004378: 7E720520
	v_mov_b32_e32 v34, 0x3020706                               // 00000000437C: 7E4402FF 03020706
	v_mov_b32_e32 v32, s63                                     // 000000004384: 7E40023F
	v_and_b32_e32 v33, 1, v0                                   // 000000004388: 26420081
	v_cmp_eq_u32_e32 vcc, 1, v33                               // 00000000438C: 7D944281
	s_mul_i32 s67, 32, s70                                     // 000000004390: 924346A0
	v_cndmask_b32_e32 v17, v32, v34, vcc                       // 000000004394: 00224520
	s_cmp_lt_u32 s47, 2                                        // 000000004398: BF0A822F
	s_cselect_b32 s24, s24, s28                                // 00000000439C: 85181C18
	s_cselect_b32 s25, s25, s29                                // 0000000043A0: 85191D19
	s_cselect_b32 s26, s26, s30                                // 0000000043A4: 851A1E1A
	s_cselect_b32 s27, s27, s31                                // 0000000043A8: 851B1F1B
	s_lshr_b32 s60, s47, 1                                     // 0000000043AC: 8F3C812F
	s_lshl_b32 s60, s60, 8                                     // 0000000043B0: 8E3C883C
	s_add_u32 s78, 0x8b00, s60                                 // 0000000043B4: 804E3CFF 00008B00
	s_add_u32 s79, 0x200, s78                                  // 0000000043BC: 804F4EFF 00000200
	s_mov_b32 s75, 0                                           // 0000000043C4: BECB0080
	s_mov_b32 s76, 1                                           // 0000000043C8: BECC0081
	s_lshl_b32 s60, s2, 1                                      // 0000000043CC: 8E3C8102
	s_add_u32 s60, 1, s60                                      // 0000000043D0: 803C3C81
	s_mul_i32 s60, 0xc0, s60                                   // 0000000043D4: 923C3CFF 000000C0
	s_cmp_ge_i32 s60, s50                                      // 0000000043DC: BF03323C
	s_cselect_b32 s76, s76, 2                                  // 0000000043E0: 854C824C

00000000000043e4 <label_00F9>:
	s_mov_b32 m0, s78                                          // 0000000043E4: BEFC004E
	s_mov_b32 s66, 0                                           // 0000000043E8: BEC20080
	v_mov_b32_e32 v178, 0xff800000                             // 0000000043EC: 7F6402FF FF800000
	s_mov_b32 s74, 0                                           // 0000000043F4: BECA0080
	s_mul_i32 s68, 32, s70                                     // 0000000043F8: 924446A0
	s_mov_b32 s69, 32                                          // 0000000043FC: BEC500A0
	s_mul_i32 s60, s2, s51                                     // 000000004400: 923C3302
	s_mul_i32 s61, s45, s5                                     // 000000004404: 923D052D
	s_mul_i32 s62, s4, s6                                      // 000000004408: 923E0604
	s_add_u32 s54, s60, s61                                    // 00000000440C: 80363D3C
	s_add_u32 s54, s54, s62                                    // 000000004410: 80363E36
	s_mul_i32 s61, s3, s52                                     // 000000004414: 923D3403
	s_mul_i32 s62, s4, s53                                     // 000000004418: 923E3504
	s_add_u32 s55, s61, s62                                    // 00000000441C: 80373E3D
	s_mul_i32 s60, 0xc0, s2                                    // 000000004420: 923C02FF 000000C0
	s_mul_i32 s60, s70, s60                                    // 000000004428: 923C3C46
	s_add_u32 s55, s60, s55                                    // 00000000442C: 8037373C
	s_mov_b32 s56, s55                                         // 000000004430: BEB80037
	s_mul_i32 s59, 0xc0, s2                                    // 000000004434: 923B02FF 000000C0
	s_add_u32 s73, 32, s59                                     // 00000000443C: 80493BA0
	s_mul_i32 s62, s4, s91                                     // 000000004440: 923E5B04
	s_mul_i32 s62, s62, s90                                    // 000000004444: 923E5A3E
	s_mul_i32 s61, s3, s90                                     // 000000004448: 923D5A03
	s_add_u32 s65, s61, s62                                    // 00000000444C: 80413E3D
	s_mul_i32 s60, 0x300, s2                                   // 000000004450: 923C02FF 00000300
	s_add_u32 s65, s60, s65                                    // 000000004458: 8041413C
	s_mov_b32 s71, s7                                          // 00000000445C: BEC70007
	v_lshrrev_b32_e32 v32, 4, v0                               // 000000004460: 20400084
	v_and_b32_e32 v33, 1, v32                                  // 000000004464: 26424081
	v_lshlrev_b32_e32 v33, 1, v33                              // 000000004468: 24424281
	v_mul_i32_i24_e32 v33, s71, v33                            // 00000000446C: 0C424247
	v_and_b32_e32 v34, 2, v32                                  // 000000004470: 26444082
	v_lshlrev_b32_e32 v34, 5, v34                              // 000000004474: 24444485
	v_add_u32_e32 v33, v34, v33                                // 000000004478: 68424322
	v_and_b32_e32 v32, 15, v0                                  // 00000000447C: 2640008F
	v_lshlrev_b32_e32 v32, 2, v32                              // 000000004480: 24404082
	v_add_u32_e32 v1, v32, v33                                 // 000000004484: 68024320
	s_mul_i32 s60, s47, s71                                    // 000000004488: 923C472F
	s_mul_i32 s60, s60, 4                                      // 00000000448C: 923C843C
	v_add_u32_e32 v1, s60, v1                                  // 000000004490: 6802023C
	v_add_u32_e32 v2, s71, v1                                  // 000000004494: 68040247
	s_mul_i32 s60, 16, s71                                     // 000000004498: 923C4790
	v_add_u32_e32 v3, s60, v1                                  // 00000000449C: 6806023C
	v_add_u32_e32 v4, s60, v2                                  // 0000000044A0: 6808043C
	v_lshrrev_b32_e32 v1, 2, v1                                // 0000000044A4: 20020282
	v_lshrrev_b32_e32 v2, 2, v2                                // 0000000044A8: 20040482
	s_add_u32 s12, s54, s82                                    // 0000000044AC: 800C5236
	s_addc_u32 s13, 0, s83                                     // 0000000044B0: 820D5380
	s_add_u32 s16, s54, s84                                    // 0000000044B4: 80105436
	s_addc_u32 s17, 0, s85                                     // 0000000044B8: 82115580
	s_add_u32 s8, s55, s80                                     // 0000000044BC: 80085037
	s_addc_u32 s9, 0, s81                                      // 0000000044C0: 82095180
	s_add_u32 s20, s56, s86                                    // 0000000044C4: 80145638
	s_addc_u32 s21, 0, s87                                     // 0000000044C8: 82155780
	v_and_b32_e32 v11, 31, v0                                  // 0000000044CC: 2616009F
	v_lshlrev_b32_e32 v11, 2, v11                              // 0000000044D0: 24161682
	v_add_u32_e32 v11, s65, v11                                // 0000000044D4: 68161641
	v_lshrrev_b32_e32 v11, 2, v11                              // 0000000044D8: 20161682
	v_lshrrev_b32_e32 v32, 3, v0                               // 0000000044DC: 20400083
	v_mul_i32_i24_e32 v5, s46, v32                             // 0000000044E0: 0C0A402E
	v_lshrrev_b32_e32 v5, 2, v5                                // 0000000044E4: 200A0A82
	v_and_b32_e32 v32, 7, v0                                   // 0000000044E8: 26400087
	v_lshlrev_b32_e32 v33, 2, v32                              // 0000000044EC: 24424082
	v_add_u32_e32 v5, v33, v5                                  // 0000000044F0: 680A0B21
	s_mul_i32 s60, 16, s46                                     // 0000000044F4: 923C2E90
	s_mul_i32 s60, s47, s60                                    // 0000000044F8: 923C3C2F
	v_lshlrev_b32_e32 v5, 2, v5                                // 0000000044FC: 240A0A82
	v_add_u32_e32 v5, s60, v5                                  // 000000004500: 680A0A3C
	s_mul_i32 s60, 0xc0, s46                                   // 000000004504: 923C2EFF 000000C0
	s_mul_i32 s60, s2, s60                                     // 00000000450C: 923C3C02
	s_mul_i32 s61, s3, s5                                      // 000000004510: 923D0503
	s_mul_i32 s62, s4, s6                                      // 000000004514: 923E0604
	s_mul_i32 s62, s62, s44                                    // 000000004518: 923E2C3E
	s_add_u32 s60, s60, s61                                    // 00000000451C: 803C3D3C
	s_add_u32 s60, s60, s62                                    // 000000004520: 803C3E3C
	v_add_u32_e32 v5, s60, v5                                  // 000000004524: 680A0A3C
	v_lshrrev_b32_e32 v5, 2, v5                                // 000000004528: 200A0A82
	v_mov_b32_e32 v6, v5                                       // 00000000452C: 7E0C0305
	v_lshrrev_b32_e32 v32, 5, v0                               // 000000004530: 20400085
	v_mul_i32_i24_e32 v7, s70, v32                             // 000000004534: 0C0E4046
	v_lshrrev_b32_e32 v7, 2, v7                                // 000000004538: 200E0E82
	v_and_b32_e32 v32, 31, v0                                  // 00000000453C: 2640009F
	v_add_u32_e32 v7, v32, v7                                  // 000000004540: 680E0F20
	s_mul_i32 s60, s70, 2                                      // 000000004544: 923C8246
	s_mul_i32 s60, s47, s60                                    // 000000004548: 923C3C2F
	v_add_u32_e32 v7, s60, v7                                  // 00000000454C: 680E0E3C
	v_lshlrev_b32_e32 v7, 2, v7                                // 000000004550: 240E0E82
	s_mul_i32 s60, 2, s70                                      // 000000004554: 923C4682
	v_add_u32_e32 v8, s60, v7                                  // 000000004558: 68100E3C
	v_add_u32_e32 v9, s60, v8                                  // 00000000455C: 6812103C
	v_add_u32_e32 v10, s60, v9                                 // 000000004560: 6814123C
	s_mov_b32 s60, s55                                         // 000000004564: BEBC0037
	v_add_u32_e32 v7, s60, v7                                  // 000000004568: 680E0E3C
	v_lshrrev_b32_e32 v7, 2, v7                                // 00000000456C: 200E0E82
	v_add_u32_e32 v8, s60, v8                                  // 000000004570: 6810103C
	v_lshrrev_b32_e32 v8, 2, v8                                // 000000004574: 20101082
	v_add_u32_e32 v9, s60, v9                                  // 000000004578: 6812123C
	v_lshrrev_b32_e32 v9, 2, v9                                // 00000000457C: 20121282
	v_add_u32_e32 v10, s60, v10                                // 000000004580: 6814143C
	v_lshrrev_b32_e32 v10, 2, v10                              // 000000004584: 20141482
	s_mul_i32 s60, 3, s2                                       // 000000004588: 923C0283
	s_lshr_b32 s61, s50, 6                                     // 00000000458C: 8F3D8632
	s_sub_i32 s72, s61, s60                                    // 000000004590: 81C83C3D
	s_cmp_lt_i32 s72, 3                                        // 000000004594: BF048348
	s_cselect_b32 s72, s72, 3                                  // 000000004598: 85488348
	v_and_b32_e32 v32, 31, v0                                  // 00000000459C: 2640009F
	v_lshrrev_b32_e32 v32, 1, v32                              // 0000000045A0: 20404081
	v_and_b32_e32 v33, 1, v32                                  // 0000000045A4: 26424081
	v_lshlrev_b32_e32 v33, 4, v33                              // 0000000045A8: 24424284
	v_and_b32_e32 v34, 2, v32                                  // 0000000045AC: 26444082
	v_lshlrev_b32_e32 v34, 2, v34                              // 0000000045B0: 24444482
	v_add_u32_e32 v33, v34, v33                                // 0000000045B4: 68424322
	v_and_b32_e32 v34, 12, v32                                 // 0000000045B8: 2644408C
	v_lshrrev_b32_e32 v34, 1, v34                              // 0000000045BC: 20444481
	v_add_u32_e32 v33, v34, v33                                // 0000000045C0: 68424322
	v_lshrrev_b32_e32 v32, 5, v0                               // 0000000045C4: 20400085
	v_mul_i32_i24_e32 v34, 0x80, v32                           // 0000000045C8: 0C4440FF 00000080
	v_add_u32_e32 v33, v34, v33                                // 0000000045D0: 68424322
	v_and_b32_e32 v34, 1, v0                                   // 0000000045D4: 26440081
	v_add_u32_e32 v13, v34, v33                                // 0000000045D8: 681A4322
	s_mul_i32 s60, s47, 32                                     // 0000000045DC: 923CA02F
	v_add_u32_e32 v13, s60, v13                                // 0000000045E0: 681A1A3C
	v_lshlrev_b32_e32 v13, 2, v13                              // 0000000045E4: 241A1A82
	v_lshrrev_b32_e32 v32, 4, v0                               // 0000000045E8: 20400084
	v_and_b32_e32 v33, 1, v32                                  // 0000000045EC: 26424081
	v_lshlrev_b32_e32 v33, 4, v33                              // 0000000045F0: 24424284
	v_and_b32_e32 v34, 2, v32                                  // 0000000045F4: 26444082
	v_mul_i32_i24_e32 v34, 4, v34                              // 0000000045F8: 0C444484
	v_add_u32_e32 v33, v34, v33                                // 0000000045FC: 68424322
	v_and_b32_e32 v32, 15, v0                                  // 000000004600: 2640008F
	v_lshrrev_b32_e32 v34, 2, v32                              // 000000004604: 20444082
	v_lshlrev_b32_e32 v34, 5, v34                              // 000000004608: 24444485
	v_add_u32_e32 v33, v34, v33                                // 00000000460C: 68424322
	v_and_b32_e32 v32, 3, v0                                   // 000000004610: 26400083
	v_and_b32_e32 v34, 1, v32                                  // 000000004614: 26444081
	v_mul_i32_i24_e32 v34, 0x108, v34                          // 000000004618: 0C4444FF 00000108
	v_add_u32_e32 v33, v34, v33                                // 000000004620: 68424322
	v_and_b32_e32 v34, 2, v32                                  // 000000004624: 26444082
	v_lshlrev_b32_e32 v34, 1, v34                              // 000000004628: 24444481
	v_add_u32_e32 v12, v34, v33                                // 00000000462C: 68184322
	v_lshlrev_b32_e32 v12, 2, v12                              // 000000004630: 24181882
	s_mul_i32 s60, s47, 0x880                                  // 000000004634: 923CFF2F 00000880
	v_add_u32_e32 v24, s60, v12                                // 00000000463C: 6830183C
	v_lshrrev_b32_e32 v32, 5, v0                               // 000000004640: 20400085
	v_mul_i32_i24_e32 v15, 0x80, v32                           // 000000004644: 0C1E40FF 00000080
	v_and_b32_e32 v32, 31, v0                                  // 00000000464C: 2640009F
	v_and_b32_e32 v33, 7, v32                                  // 000000004650: 26424087
	v_and_b32_e32 v34, 1, v33                                  // 000000004654: 26444281
	v_lshlrev_b32_e32 v34, 2, v34                              // 000000004658: 24444482
	v_add_u32_e32 v15, v34, v15                                // 00000000465C: 681E1F22
	v_and_b32_e32 v34, 2, v33                                  // 000000004660: 26444282
	v_lshlrev_b32_e32 v34, 3, v34                              // 000000004664: 24444483
	v_add_u32_e32 v15, v34, v15                                // 000000004668: 681E1F22
	v_and_b32_e32 v34, 4, v33                                  // 00000000466C: 26444284
	v_lshlrev_b32_e32 v34, 1, v34                              // 000000004670: 24444481
	v_add_u32_e32 v15, v34, v15                                // 000000004674: 681E1F22
	v_lshrrev_b32_e32 v33, 3, v32                              // 000000004678: 20424083
	v_and_b32_e32 v34, 1, v33                                  // 00000000467C: 26444281
	v_lshlrev_b32_e32 v34, 1, v34                              // 000000004680: 24444481
	v_add_u32_e32 v15, v34, v15                                // 000000004684: 681E1F22
	v_and_b32_e32 v34, 2, v33                                  // 000000004688: 26444282
	v_lshrrev_b32_e32 v34, 1, v34                              // 00000000468C: 20444481
	v_add_u32_e32 v15, v34, v15                                // 000000004690: 681E1F22
	s_mul_i32 s60, s47, 32                                     // 000000004694: 923CA02F
	v_add_u32_e32 v15, s60, v15                                // 000000004698: 681E1E3C
	v_lshlrev_b32_e32 v15, 2, v15                              // 00000000469C: 241E1E82
	v_and_b32_e32 v32, 15, v0                                  // 0000000046A0: 2640008F
	v_and_b32_e32 v34, 1, v32                                  // 0000000046A4: 26444081
	v_mul_i32_i24_e32 v14, 0x108, v34                          // 0000000046A8: 0C1C44FF 00000108
	v_and_b32_e32 v34, 2, v32                                  // 0000000046B0: 26444082
	v_lshlrev_b32_e32 v34, 1, v34                              // 0000000046B4: 24444481
	v_add_u32_e32 v14, v34, v14                                // 0000000046B8: 681C1D22
	v_and_b32_e32 v34, 4, v32                                  // 0000000046BC: 26444084
	v_lshlrev_b32_e32 v34, 2, v34                              // 0000000046C0: 24444482
	v_add_u32_e32 v14, v34, v14                                // 0000000046C4: 681C1D22
	v_and_b32_e32 v34, 8, v32                                  // 0000000046C8: 26444088
	v_add_u32_e32 v14, v34, v14                                // 0000000046CC: 681C1D22
	v_lshrrev_b32_e32 v32, 4, v0                               // 0000000046D0: 20400084
	v_and_b32_e32 v34, 1, v32                                  // 0000000046D4: 26444081
	v_lshlrev_b32_e32 v34, 5, v34                              // 0000000046D8: 24444485
	v_add_u32_e32 v14, v34, v14                                // 0000000046DC: 681C1D22
	v_and_b32_e32 v33, 2, v32                                  // 0000000046E0: 26424082
	v_mul_i32_i24_e32 v34, 32, v33                             // 0000000046E4: 0C4442A0
	v_mul_i32_i24_e32 v33, 0x110, v33                          // 0000000046E8: 0C4242FF 00000110
	v_add_u32_e32 v25, v33, v14                                // 0000000046F0: 68321D21
	v_add_u32_e32 v14, v34, v14                                // 0000000046F4: 681C1D22
	v_lshlrev_b32_e32 v14, 2, v14                              // 0000000046F8: 241C1C82
	v_lshlrev_b32_e32 v25, 2, v25                              // 0000000046FC: 24323282
	s_and_b32 s60, 1, s47                                      // 000000004700: 863C2F81
	s_mul_i32 s60, s60, 0x200                                  // 000000004704: 923CFF3C 00000200
	v_add_u32_e32 v25, s60, v25                                // 00000000470C: 6832323C
	v_lshrrev_b32_e32 v32, 4, v0                               // 000000004710: 20400084
	v_mul_i32_i24_e32 v23, 4, v32                              // 000000004714: 0C2E4084
	v_and_b32_e32 v33, 3, v0                                   // 000000004718: 26420083
	v_add_u32_e32 v23, v33, v23                                // 00000000471C: 682E2F21
	v_lshlrev_b32_e32 v23, 2, v23                              // 000000004720: 242E2E82
	v_lshrrev_b32_e32 v32, 5, v0                               // 000000004724: 20400085
	v_mul_i32_i24_e32 v21, 2, v32                              // 000000004728: 0C2A4082
	v_and_b32_e32 v32, 31, v0                                  // 00000000472C: 2640009F
	v_lshrrev_b32_e32 v32, 1, v32                              // 000000004730: 20404081
	v_mul_i32_i24_e32 v33, 34, v32                             // 000000004734: 0C4240A2
	v_add_u32_e32 v21, v33, v21                                // 000000004738: 682A2B21
	v_and_b32_e32 v33, 1, v0                                   // 00000000473C: 26420081
	v_add_u32_e32 v21, v33, v21                                // 000000004740: 682A2B21
	s_and_b32 s60, 1, s47                                      // 000000004744: 863C2F81
	s_mul_i32 s60, s60, 16                                     // 000000004748: 923C903C
	s_lshr_b32 s61, s47, 1                                     // 00000000474C: 8F3D812F
	s_mul_i32 s61, s61, 0x220                                  // 000000004750: 923DFF3D 00000220
	s_add_u32 s60, s60, s61                                    // 000000004758: 803C3D3C
	v_add_u32_e32 v21, s60, v21                                // 00000000475C: 682A2A3C
	v_lshlrev_b32_e32 v21, 2, v21                              // 000000004760: 242A2A82
	v_lshrrev_b32_e32 v32, 4, v0                               // 000000004764: 20400084
	v_mul_i32_i24_e32 v22, 34, v32                             // 000000004768: 0C2C40A2
	v_and_b32_e32 v32, 15, v0                                  // 00000000476C: 2640008F
	v_mul_i32_i24_e32 v33, 2, v32                              // 000000004770: 0C424082
	v_add_u32_e32 v22, v33, v22                                // 000000004774: 682C2D21
	s_mul_i32 s60, s47, 0x110                                  // 000000004778: 923CFF2F 00000110
	v_add_u32_e32 v22, s60, v22                                // 000000004780: 682C2C3C
	v_lshlrev_b32_e32 v22, 2, v22                              // 000000004784: 242C2C82
	v_lshrrev_b32_e32 v32, 5, v0                               // 000000004788: 20400085
	v_mul_i32_i24_e32 v19, 64, v32                             // 00000000478C: 0C2640C0
	v_and_b32_e32 v32, 31, v0                                  // 000000004790: 2640009F
	v_and_b32_e32 v32, 3, v32                                  // 000000004794: 26404083
	v_and_b32_e32 v33, 1, v32                                  // 000000004798: 26424081
	v_mul_i32_i24_e32 v33, 4, v33                              // 00000000479C: 0C424284
	v_add_u32_e32 v19, v33, v19                                // 0000000047A0: 68262721
	v_and_b32_e32 v33, 2, v32                                  // 0000000047A4: 26424082
	v_mul_i32_i24_e32 v33, 0x44, v33                           // 0000000047A8: 0C4242FF 00000044
	v_add_u32_e32 v19, v33, v19                                // 0000000047B0: 68262721
	v_and_b32_e32 v32, 31, v0                                  // 0000000047B4: 2640009F
	v_lshrrev_b32_e32 v32, 2, v32                              // 0000000047B8: 20404082
	v_lshrrev_b32_e32 v34, 2, v32                              // 0000000047BC: 20444082
	v_mul_i32_i24_e32 v33, 16, v34                             // 0000000047C0: 0C424490
	v_add_u32_e32 v19, v33, v19                                // 0000000047C4: 68262721
	v_and_b32_e32 v33, 2, v32                                  // 0000000047C8: 26424082
	v_lshlrev_b32_e32 v33, 4, v33                              // 0000000047CC: 24424284
	v_add_u32_e32 v19, v33, v19                                // 0000000047D0: 68262721
	v_and_b32_e32 v33, 1, v32                                  // 0000000047D4: 26424081
	v_xor_b32_e32 v33, v34, v33                                // 0000000047D8: 2A424322
	v_mul_i32_i24_e32 v33, 8, v33                              // 0000000047DC: 0C424288
	v_add_u32_e32 v19, v33, v19                                // 0000000047E0: 68262721
	s_lshr_b32 s60, s47, 1                                     // 0000000047E4: 8F3C812F
	s_mul_i32 s60, s60, 0x6c0                                  // 0000000047E8: 923CFF3C 000006C0
	v_add_u32_e32 v19, s60, v19                                // 0000000047F0: 6826263C
	v_lshlrev_b32_e32 v19, 2, v19                              // 0000000047F4: 24262682
	v_lshrrev_b32_e32 v32, 5, v0                               // 0000000047F8: 20400085
	v_mul_i32_i24_e32 v20, 32, v32                             // 0000000047FC: 0C2840A0
	v_and_b32_e32 v32, 31, v0                                  // 000000004800: 2640009F
	v_and_b32_e32 v32, 3, v32                                  // 000000004804: 26404083
	v_and_b32_e32 v33, 1, v32                                  // 000000004808: 26424081
	v_mul_i32_i24_e32 v33, 4, v33                              // 00000000480C: 0C424284
	v_add_u32_e32 v20, v33, v20                                // 000000004810: 68282921
	v_and_b32_e32 v33, 2, v32                                  // 000000004814: 26424082
	v_lshrrev_b32_e32 v33, 1, v33                              // 000000004818: 20424281
	v_add_u32_e32 v20, v33, v20                                // 00000000481C: 68282921
	v_and_b32_e32 v32, 31, v0                                  // 000000004820: 2640009F
	v_lshrrev_b32_e32 v32, 2, v32                              // 000000004824: 20404082
	v_and_b32_e32 v34, 1, v32                                  // 000000004828: 26444081
	v_mul_i32_i24_e32 v33, 16, v34                             // 00000000482C: 0C424490
	v_add_u32_e32 v20, v33, v20                                // 000000004830: 68282921
	v_and_b32_e32 v33, 2, v32                                  // 000000004834: 26424082
	v_add_u32_e32 v20, v33, v20                                // 000000004838: 68282921
	v_lshrrev_b32_e32 v33, 2, v32                              // 00000000483C: 20424082
	v_xor_b32_e32 v33, v34, v33                                // 000000004840: 2A424322
	v_mul_i32_i24_e32 v33, 8, v33                              // 000000004844: 0C424288
	v_add_u32_e32 v20, v33, v20                                // 000000004848: 68282921
	s_and_b32 s60, 1, s47                                      // 00000000484C: 863C2F81
	s_mul_i32 s60, s60, 64                                     // 000000004850: 923CC03C
	s_lshr_b32 s61, s47, 1                                     // 000000004854: 8F3D812F
	s_mul_i32 s61, s61, 0x120                                  // 000000004858: 923DFF3D 00000120
	s_add_u32 s60, s60, s61                                    // 000000004860: 803C3D3C
	v_add_u32_e32 v20, s60, v20                                // 000000004864: 6828283C
	v_lshlrev_b32_e32 v20, 2, v20                              // 000000004868: 24282882
	buffer_load_dword v180, v1, s[12:15], 0 idxen              // 00000000486C: E0502000 8003B401
	buffer_load_dword v181, v2, s[12:15], 0 idxen              // 000000004874: E0502000 8003B502
	s_mul_i32 s60, 16, s7                                      // 00000000487C: 923C0790
	s_cmp_lt_i32 0, s72                                        // 000000004880: BF044880
	s_cselect_b32 s60, s60, 0                                  // 000000004884: 853C803C
	s_add_u32 s12, s60, s12                                    // 000000004888: 800C0C3C
	s_addc_u32 s13, 0, s13                                     // 00000000488C: 820D0D80
	buffer_load_dword v182, v1, s[12:15], 0 idxen              // 000000004890: E0502000 8003B601
	buffer_load_dword v183, v2, s[12:15], 0 idxen              // 000000004898: E0502000 8003B702
	s_mul_i32 s60, 16, s7                                      // 0000000048A0: 923C0790
	s_cmp_lt_i32 0, s72                                        // 0000000048A4: BF044880
	s_cselect_b32 s60, s60, 0                                  // 0000000048A8: 853C803C
	s_add_u32 s12, s60, s12                                    // 0000000048AC: 800C0C3C
	s_addc_u32 s13, 0, s13                                     // 0000000048B0: 820D0D80
	buffer_load_dword v184, v1, s[12:15], 0 idxen              // 0000000048B4: E0502000 8003B801
	buffer_load_dword v185, v2, s[12:15], 0 idxen              // 0000000048BC: E0502000 8003B902
	s_mul_i32 s60, 16, s7                                      // 0000000048C4: 923C0790
	s_cmp_lt_i32 0, s72                                        // 0000000048C8: BF044880
	s_cselect_b32 s60, s60, 0                                  // 0000000048CC: 853C803C
	s_add_u32 s12, s60, s12                                    // 0000000048D0: 800C0C3C
	s_addc_u32 s13, 0, s13                                     // 0000000048D4: 820D0D80
	buffer_load_dword v186, v1, s[12:15], 0 idxen              // 0000000048D8: E0502000 8003BA01
	buffer_load_dword v187, v2, s[12:15], 0 idxen              // 0000000048E0: E0502000 8003BB02
	s_mul_i32 s60, 16, s7                                      // 0000000048E8: 923C0790
	s_cmp_lt_i32 1, s72                                        // 0000000048EC: BF044881
	s_cselect_b32 s60, s60, 0                                  // 0000000048F0: 853C803C
	s_add_u32 s12, s60, s12                                    // 0000000048F4: 800C0C3C
	s_addc_u32 s13, 0, s13                                     // 0000000048F8: 820D0D80
	buffer_load_dword v188, v1, s[12:15], 0 idxen              // 0000000048FC: E0502000 8003BC01
	buffer_load_dword v189, v2, s[12:15], 0 idxen              // 000000004904: E0502000 8003BD02
	s_mul_i32 s60, 16, s7                                      // 00000000490C: 923C0790
	s_cmp_lt_i32 1, s72                                        // 000000004910: BF044881
	s_cselect_b32 s60, s60, 0                                  // 000000004914: 853C803C
	s_add_u32 s12, s60, s12                                    // 000000004918: 800C0C3C
	s_addc_u32 s13, 0, s13                                     // 00000000491C: 820D0D80
	buffer_load_dword v190, v1, s[12:15], 0 idxen              // 000000004920: E0502000 8003BE01
	buffer_load_dword v191, v2, s[12:15], 0 idxen              // 000000004928: E0502000 8003BF02
	s_mul_i32 s60, 16, s7                                      // 000000004930: 923C0790
	s_cmp_lt_i32 1, s72                                        // 000000004934: BF044881
	s_cselect_b32 s60, s60, 0                                  // 000000004938: 853C803C
	s_add_u32 s12, s60, s12                                    // 00000000493C: 800C0C3C
	s_addc_u32 s13, 0, s13                                     // 000000004940: 820D0D80
	buffer_load_dword v192, v1, s[12:15], 0 idxen              // 000000004944: E0502000 8003C001
	buffer_load_dword v193, v2, s[12:15], 0 idxen              // 00000000494C: E0502000 8003C102
	s_mul_i32 s60, 16, s7                                      // 000000004954: 923C0790
	s_cmp_lt_i32 1, s72                                        // 000000004958: BF044881
	s_cselect_b32 s60, s60, 0                                  // 00000000495C: 853C803C
	s_add_u32 s12, s60, s12                                    // 000000004960: 800C0C3C
	s_addc_u32 s13, 0, s13                                     // 000000004964: 820D0D80
	buffer_load_dword v194, v1, s[12:15], 0 idxen              // 000000004968: E0502000 8003C201
	buffer_load_dword v195, v2, s[12:15], 0 idxen              // 000000004970: E0502000 8003C302
	s_mul_i32 s60, 16, s7                                      // 000000004978: 923C0790
	s_cmp_lt_i32 2, s72                                        // 00000000497C: BF044882
	s_cselect_b32 s60, s60, 0                                  // 000000004980: 853C803C
	s_add_u32 s12, s60, s12                                    // 000000004984: 800C0C3C
	s_addc_u32 s13, 0, s13                                     // 000000004988: 820D0D80
	buffer_load_dword v196, v1, s[12:15], 0 idxen              // 00000000498C: E0502000 8003C401
	buffer_load_dword v197, v2, s[12:15], 0 idxen              // 000000004994: E0502000 8003C502
	s_mul_i32 s60, 16, s7                                      // 00000000499C: 923C0790
	s_cmp_lt_i32 2, s72                                        // 0000000049A0: BF044882
	s_cselect_b32 s60, s60, 0                                  // 0000000049A4: 853C803C
	s_add_u32 s12, s60, s12                                    // 0000000049A8: 800C0C3C
	s_addc_u32 s13, 0, s13                                     // 0000000049AC: 820D0D80
	buffer_load_dword v198, v1, s[12:15], 0 idxen              // 0000000049B0: E0502000 8003C601
	buffer_load_dword v199, v2, s[12:15], 0 idxen              // 0000000049B8: E0502000 8003C702
	s_mul_i32 s60, 16, s7                                      // 0000000049C0: 923C0790
	s_cmp_lt_i32 2, s72                                        // 0000000049C4: BF044882
	s_cselect_b32 s60, s60, 0                                  // 0000000049C8: 853C803C
	s_add_u32 s12, s60, s12                                    // 0000000049CC: 800C0C3C
	s_addc_u32 s13, 0, s13                                     // 0000000049D0: 820D0D80
	buffer_load_dword v200, v1, s[12:15], 0 idxen              // 0000000049D4: E0502000 8003C801
	buffer_load_dword v201, v2, s[12:15], 0 idxen              // 0000000049DC: E0502000 8003C902
	s_mul_i32 s60, 16, s7                                      // 0000000049E4: 923C0790
	s_cmp_lt_i32 2, s72                                        // 0000000049E8: BF044882
	s_cselect_b32 s60, s60, 0                                  // 0000000049EC: 853C803C
	s_add_u32 s12, s60, s12                                    // 0000000049F0: 800C0C3C
	s_addc_u32 s13, 0, s13                                     // 0000000049F4: 820D0D80
	buffer_load_dword v202, v1, s[12:15], 0 idxen              // 0000000049F8: E0502000 8003CA01
	buffer_load_dword v203, v2, s[12:15], 0 idxen              // 000000004A00: E0502000 8003CB02
	s_mul_i32 s60, 16, s7                                      // 000000004A08: 923C0790
	s_cmp_lt_i32 3, s72                                        // 000000004A0C: BF044883
	s_cselect_b32 s60, s60, 0                                  // 000000004A10: 853C803C
	s_add_u32 s12, s60, s12                                    // 000000004A14: 800C0C3C
	s_addc_u32 s13, 0, s13                                     // 000000004A18: 820D0D80
	s_waitcnt vmcnt(16) lgkmcnt(0)                             // 000000004A1C: BF8C4070
	s_barrier                                                  // 000000004A20: BF8A0000
	s_cmp_lt_i32 0, s72                                        // 000000004A24: BF044880
	s_cbranch_scc1 label_0293                                  // 000000004A28: BF850008
	v_mov_b32_e32 v180, 0                                      // 000000004A2C: 7F680280
	v_mov_b32_e32 v181, 0                                      // 000000004A30: 7F6A0280
	v_mov_b32_e32 v182, 0                                      // 000000004A34: 7F6C0280
	v_mov_b32_e32 v183, 0                                      // 000000004A38: 7F6E0280
	v_mov_b32_e32 v184, 0                                      // 000000004A3C: 7F700280
	v_mov_b32_e32 v185, 0                                      // 000000004A40: 7F720280
	v_mov_b32_e32 v186, 0                                      // 000000004A44: 7F740280
	v_mov_b32_e32 v187, 0                                      // 000000004A48: 7F760280

0000000000004a4c <label_0293>:
	v_perm_b32 v204, v181, v180, s63                           // 000000004A4C: D1ED00CC 00FF69B5
	v_perm_b32 v205, v181, v180, s64                           // 000000004A54: D1ED00CD 010369B5
	v_perm_b32 v206, v183, v182, s63                           // 000000004A5C: D1ED00CE 00FF6DB7
	v_perm_b32 v207, v183, v182, s64                           // 000000004A64: D1ED00CF 01036DB7
	v_perm_b32 v208, v185, v184, s63                           // 000000004A6C: D1ED00D0 00FF71B9
	v_perm_b32 v209, v185, v184, s64                           // 000000004A74: D1ED00D1 010371B9
	v_perm_b32 v210, v187, v186, s63                           // 000000004A7C: D1ED00D2 00FF75BB
	v_perm_b32 v211, v187, v186, s64                           // 000000004A84: D1ED00D3 010375BB
	ds_write_b32 v15, v204 offset:8704                         // 000000004A8C: D81A2200 0000CC0F
	ds_write_b32 v15, v205 offset:9760                         // 000000004A94: D81A2620 0000CD0F
	ds_write_b32 v15, v206 offset:10880                        // 000000004A9C: D81A2A80 0000CE0F
	ds_write_b32 v15, v207 offset:11936                        // 000000004AA4: D81A2EA0 0000CF0F
	ds_write_b32 v15, v208 offset:13056                        // 000000004AAC: D81A3300 0000D00F
	ds_write_b32 v15, v209 offset:14112                        // 000000004AB4: D81A3720 0000D10F
	ds_write_b32 v15, v210 offset:15232                        // 000000004ABC: D81A3B80 0000D20F
	ds_write_b32 v15, v211 offset:16288                        // 000000004AC4: D81A3FA0 0000D30F
	ds_write_b32 v13, v180                                     // 000000004ACC: D81A0000 0000B40D
	ds_write_b32 v13, v181 offset:1056                         // 000000004AD4: D81A0420 0000B50D
	ds_write_b32 v13, v182 offset:2176                         // 000000004ADC: D81A0880 0000B60D
	ds_write_b32 v13, v183 offset:3232                         // 000000004AE4: D81A0CA0 0000B70D
	ds_write_b32 v13, v184 offset:4352                         // 000000004AEC: D81A1100 0000B80D
	ds_write_b32 v13, v185 offset:5408                         // 000000004AF4: D81A1520 0000B90D
	ds_write_b32 v13, v186 offset:6528                         // 000000004AFC: D81A1980 0000BA0D
	ds_write_b32 v13, v187 offset:7584                         // 000000004B04: D81A1DA0 0000BB0D
	buffer_load_dword v180, v1, s[16:19], 0 idxen              // 000000004B0C: E0502000 8004B401
	buffer_load_dword v181, v2, s[16:19], 0 idxen              // 000000004B14: E0502000 8004B502
	s_mul_i32 s60, 16, s7                                      // 000000004B1C: 923C0790
	s_cmp_lt_i32 0, s72                                        // 000000004B20: BF044880
	s_cselect_b32 s60, s60, 0                                  // 000000004B24: 853C803C
	s_add_u32 s16, s60, s16                                    // 000000004B28: 8010103C
	s_addc_u32 s17, 0, s17                                     // 000000004B2C: 82111180
	buffer_load_dword v182, v1, s[16:19], 0 idxen              // 000000004B30: E0502000 8004B601
	buffer_load_dword v183, v2, s[16:19], 0 idxen              // 000000004B38: E0502000 8004B702
	s_mul_i32 s60, 16, s7                                      // 000000004B40: 923C0790
	s_cmp_lt_i32 0, s72                                        // 000000004B44: BF044880
	s_cselect_b32 s60, s60, 0                                  // 000000004B48: 853C803C
	s_add_u32 s16, s60, s16                                    // 000000004B4C: 8010103C
	s_addc_u32 s17, 0, s17                                     // 000000004B50: 82111180
	buffer_load_dword v184, v1, s[16:19], 0 idxen              // 000000004B54: E0502000 8004B801
	buffer_load_dword v185, v2, s[16:19], 0 idxen              // 000000004B5C: E0502000 8004B902
	s_mul_i32 s60, 16, s7                                      // 000000004B64: 923C0790
	s_cmp_lt_i32 0, s72                                        // 000000004B68: BF044880
	s_cselect_b32 s60, s60, 0                                  // 000000004B6C: 853C803C
	s_add_u32 s16, s60, s16                                    // 000000004B70: 8010103C
	s_addc_u32 s17, 0, s17                                     // 000000004B74: 82111180
	buffer_load_dword v186, v1, s[16:19], 0 idxen              // 000000004B78: E0502000 8004BA01
	buffer_load_dword v187, v2, s[16:19], 0 idxen              // 000000004B80: E0502000 8004BB02
	s_mul_i32 s60, 16, s7                                      // 000000004B88: 923C0790
	s_cmp_lt_i32 1, s72                                        // 000000004B8C: BF044881
	s_cselect_b32 s60, s60, 0                                  // 000000004B90: 853C803C
	s_add_u32 s16, s60, s16                                    // 000000004B94: 8010103C
	s_addc_u32 s17, 0, s17                                     // 000000004B98: 82111180
	s_waitcnt lgkmcnt(0)                                       // 000000004B9C: BF8CC07F
	s_barrier                                                  // 000000004BA0: BF8A0000
	ds_read_b128 a[24:27], v25 offset:8704                     // 000000004BA4: DBFE2200 18000019
	ds_read_b128 a[28:31], v25 offset:8960                     // 000000004BAC: DBFE2300 1C000019
	ds_read_b128 a[32:35], v25 offset:13056                    // 000000004BB4: DBFE3300 20000019
	ds_read_b128 a[36:39], v25 offset:13312                    // 000000004BBC: DBFE3400 24000019
	ds_read_b128 a[0:3], v24                                   // 000000004BC4: DBFE0000 00000018
	ds_read_b128 a[4:7], v24 offset:512                        // 000000004BCC: DBFE0200 04000018
	s_waitcnt vmcnt(16) lgkmcnt(0)                             // 000000004BD4: BF8C4070
	s_barrier                                                  // 000000004BD8: BF8A0000
	s_cmp_lt_i32 1, s72                                        // 000000004BDC: BF044881
	s_cbranch_scc1 label_0301                                  // 000000004BE0: BF850008
	v_mov_b32_e32 v188, 0                                      // 000000004BE4: 7F780280
	v_mov_b32_e32 v189, 0                                      // 000000004BE8: 7F7A0280
	v_mov_b32_e32 v190, 0                                      // 000000004BEC: 7F7C0280
	v_mov_b32_e32 v191, 0                                      // 000000004BF0: 7F7E0280
	v_mov_b32_e32 v192, 0                                      // 000000004BF4: 7F800280
	v_mov_b32_e32 v193, 0                                      // 000000004BF8: 7F820280
	v_mov_b32_e32 v194, 0                                      // 000000004BFC: 7F840280
	v_mov_b32_e32 v195, 0                                      // 000000004C00: 7F860280

0000000000004c04 <label_0301>:
	v_perm_b32 v204, v189, v188, s63                           // 000000004C04: D1ED00CC 00FF79BD
	v_perm_b32 v205, v189, v188, s64                           // 000000004C0C: D1ED00CD 010379BD
	v_perm_b32 v206, v191, v190, s63                           // 000000004C14: D1ED00CE 00FF7DBF
	v_perm_b32 v207, v191, v190, s64                           // 000000004C1C: D1ED00CF 01037DBF
	v_perm_b32 v208, v193, v192, s63                           // 000000004C24: D1ED00D0 00FF81C1
	v_perm_b32 v209, v193, v192, s64                           // 000000004C2C: D1ED00D1 010381C1
	v_perm_b32 v210, v195, v194, s63                           // 000000004C34: D1ED00D2 00FF85C3
	v_perm_b32 v211, v195, v194, s64                           // 000000004C3C: D1ED00D3 010385C3
	ds_write_b32 v15, v204 offset:8704                         // 000000004C44: D81A2200 0000CC0F
	ds_write_b32 v15, v205 offset:9760                         // 000000004C4C: D81A2620 0000CD0F
	ds_write_b32 v15, v206 offset:10880                        // 000000004C54: D81A2A80 0000CE0F
	ds_write_b32 v15, v207 offset:11936                        // 000000004C5C: D81A2EA0 0000CF0F
	ds_write_b32 v15, v208 offset:13056                        // 000000004C64: D81A3300 0000D00F
	ds_write_b32 v15, v209 offset:14112                        // 000000004C6C: D81A3720 0000D10F
	ds_write_b32 v15, v210 offset:15232                        // 000000004C74: D81A3B80 0000D20F
	ds_write_b32 v15, v211 offset:16288                        // 000000004C7C: D81A3FA0 0000D30F
	ds_write_b32 v13, v188                                     // 000000004C84: D81A0000 0000BC0D
	ds_write_b32 v13, v189 offset:1056                         // 000000004C8C: D81A0420 0000BD0D
	ds_write_b32 v13, v190 offset:2176                         // 000000004C94: D81A0880 0000BE0D
	ds_write_b32 v13, v191 offset:3232                         // 000000004C9C: D81A0CA0 0000BF0D
	ds_write_b32 v13, v192 offset:4352                         // 000000004CA4: D81A1100 0000C00D
	ds_write_b32 v13, v193 offset:5408                         // 000000004CAC: D81A1520 0000C10D
	ds_write_b32 v13, v194 offset:6528                         // 000000004CB4: D81A1980 0000C20D
	ds_write_b32 v13, v195 offset:7584                         // 000000004CBC: D81A1DA0 0000C30D
	buffer_load_dword v188, v1, s[16:19], 0 idxen              // 000000004CC4: E0502000 8004BC01
	buffer_load_dword v189, v2, s[16:19], 0 idxen              // 000000004CCC: E0502000 8004BD02
	s_mul_i32 s60, 16, s7                                      // 000000004CD4: 923C0790
	s_cmp_lt_i32 1, s72                                        // 000000004CD8: BF044881
	s_cselect_b32 s60, s60, 0                                  // 000000004CDC: 853C803C
	s_add_u32 s16, s60, s16                                    // 000000004CE0: 8010103C
	s_addc_u32 s17, 0, s17                                     // 000000004CE4: 82111180
	buffer_load_dword v190, v1, s[16:19], 0 idxen              // 000000004CE8: E0502000 8004BE01
	buffer_load_dword v191, v2, s[16:19], 0 idxen              // 000000004CF0: E0502000 8004BF02
	s_mul_i32 s60, 16, s7                                      // 000000004CF8: 923C0790
	s_cmp_lt_i32 1, s72                                        // 000000004CFC: BF044881
	s_cselect_b32 s60, s60, 0                                  // 000000004D00: 853C803C
	s_add_u32 s16, s60, s16                                    // 000000004D04: 8010103C
	s_addc_u32 s17, 0, s17                                     // 000000004D08: 82111180
	buffer_load_dword v192, v1, s[16:19], 0 idxen              // 000000004D0C: E0502000 8004C001
	buffer_load_dword v193, v2, s[16:19], 0 idxen              // 000000004D14: E0502000 8004C102
	s_mul_i32 s60, 16, s7                                      // 000000004D1C: 923C0790
	s_cmp_lt_i32 1, s72                                        // 000000004D20: BF044881
	s_cselect_b32 s60, s60, 0                                  // 000000004D24: 853C803C
	s_add_u32 s16, s60, s16                                    // 000000004D28: 8010103C
	s_addc_u32 s17, 0, s17                                     // 000000004D2C: 82111180
	buffer_load_dword v194, v1, s[16:19], 0 idxen              // 000000004D30: E0502000 8004C201
	buffer_load_dword v195, v2, s[16:19], 0 idxen              // 000000004D38: E0502000 8004C302
	s_mul_i32 s60, 16, s7                                      // 000000004D40: 923C0790
	s_cmp_lt_i32 2, s72                                        // 000000004D44: BF044882
	s_cselect_b32 s60, s60, 0                                  // 000000004D48: 853C803C
	s_add_u32 s16, s60, s16                                    // 000000004D4C: 8010103C
	s_addc_u32 s17, 0, s17                                     // 000000004D50: 82111180
	s_waitcnt lgkmcnt(0)                                       // 000000004D54: BF8CC07F
	s_barrier                                                  // 000000004D58: BF8A0000
	ds_read_b128 a[40:43], v25 offset:8704                     // 000000004D5C: DBFE2200 28000019
	ds_read_b128 a[44:47], v25 offset:8960                     // 000000004D64: DBFE2300 2C000019
	ds_read_b128 a[48:51], v25 offset:13056                    // 000000004D6C: DBFE3300 30000019
	ds_read_b128 a[52:55], v25 offset:13312                    // 000000004D74: DBFE3400 34000019
	ds_read_b128 a[8:11], v24                                  // 000000004D7C: DBFE0000 08000018
	ds_read_b128 a[12:15], v24 offset:512                      // 000000004D84: DBFE0200 0C000018
	s_waitcnt vmcnt(16) lgkmcnt(0)                             // 000000004D8C: BF8C4070
	s_barrier                                                  // 000000004D90: BF8A0000
	s_cmp_lt_i32 2, s72                                        // 000000004D94: BF044882
	s_cbranch_scc1 label_036F                                  // 000000004D98: BF850008
	v_mov_b32_e32 v196, 0                                      // 000000004D9C: 7F880280
	v_mov_b32_e32 v197, 0                                      // 000000004DA0: 7F8A0280
	v_mov_b32_e32 v198, 0                                      // 000000004DA4: 7F8C0280
	v_mov_b32_e32 v199, 0                                      // 000000004DA8: 7F8E0280
	v_mov_b32_e32 v200, 0                                      // 000000004DAC: 7F900280
	v_mov_b32_e32 v201, 0                                      // 000000004DB0: 7F920280
	v_mov_b32_e32 v202, 0                                      // 000000004DB4: 7F940280
	v_mov_b32_e32 v203, 0                                      // 000000004DB8: 7F960280

0000000000004dbc <label_036F>:
	v_perm_b32 v204, v197, v196, s63                           // 000000004DBC: D1ED00CC 00FF89C5
	v_perm_b32 v205, v197, v196, s64                           // 000000004DC4: D1ED00CD 010389C5
	v_perm_b32 v206, v199, v198, s63                           // 000000004DCC: D1ED00CE 00FF8DC7
	v_perm_b32 v207, v199, v198, s64                           // 000000004DD4: D1ED00CF 01038DC7
	v_perm_b32 v208, v201, v200, s63                           // 000000004DDC: D1ED00D0 00FF91C9
	v_perm_b32 v209, v201, v200, s64                           // 000000004DE4: D1ED00D1 010391C9
	v_perm_b32 v210, v203, v202, s63                           // 000000004DEC: D1ED00D2 00FF95CB
	v_perm_b32 v211, v203, v202, s64                           // 000000004DF4: D1ED00D3 010395CB
	ds_write_b32 v15, v204 offset:8704                         // 000000004DFC: D81A2200 0000CC0F
	ds_write_b32 v15, v205 offset:9760                         // 000000004E04: D81A2620 0000CD0F
	ds_write_b32 v15, v206 offset:10880                        // 000000004E0C: D81A2A80 0000CE0F
	ds_write_b32 v15, v207 offset:11936                        // 000000004E14: D81A2EA0 0000CF0F
	ds_write_b32 v15, v208 offset:13056                        // 000000004E1C: D81A3300 0000D00F
	ds_write_b32 v15, v209 offset:14112                        // 000000004E24: D81A3720 0000D10F
	ds_write_b32 v15, v210 offset:15232                        // 000000004E2C: D81A3B80 0000D20F
	ds_write_b32 v15, v211 offset:16288                        // 000000004E34: D81A3FA0 0000D30F
	ds_write_b32 v13, v196                                     // 000000004E3C: D81A0000 0000C40D
	ds_write_b32 v13, v197 offset:1056                         // 000000004E44: D81A0420 0000C50D
	ds_write_b32 v13, v198 offset:2176                         // 000000004E4C: D81A0880 0000C60D
	ds_write_b32 v13, v199 offset:3232                         // 000000004E54: D81A0CA0 0000C70D
	ds_write_b32 v13, v200 offset:4352                         // 000000004E5C: D81A1100 0000C80D
	ds_write_b32 v13, v201 offset:5408                         // 000000004E64: D81A1520 0000C90D
	ds_write_b32 v13, v202 offset:6528                         // 000000004E6C: D81A1980 0000CA0D
	ds_write_b32 v13, v203 offset:7584                         // 000000004E74: D81A1DA0 0000CB0D
	buffer_load_dword v196, v1, s[16:19], 0 idxen              // 000000004E7C: E0502000 8004C401
	buffer_load_dword v197, v2, s[16:19], 0 idxen              // 000000004E84: E0502000 8004C502
	s_mul_i32 s60, 16, s7                                      // 000000004E8C: 923C0790
	s_cmp_lt_i32 2, s72                                        // 000000004E90: BF044882
	s_cselect_b32 s60, s60, 0                                  // 000000004E94: 853C803C
	s_add_u32 s16, s60, s16                                    // 000000004E98: 8010103C
	s_addc_u32 s17, 0, s17                                     // 000000004E9C: 82111180
	buffer_load_dword v198, v1, s[16:19], 0 idxen              // 000000004EA0: E0502000 8004C601
	buffer_load_dword v199, v2, s[16:19], 0 idxen              // 000000004EA8: E0502000 8004C702
	s_mul_i32 s60, 16, s7                                      // 000000004EB0: 923C0790
	s_cmp_lt_i32 2, s72                                        // 000000004EB4: BF044882
	s_cselect_b32 s60, s60, 0                                  // 000000004EB8: 853C803C
	s_add_u32 s16, s60, s16                                    // 000000004EBC: 8010103C
	s_addc_u32 s17, 0, s17                                     // 000000004EC0: 82111180
	buffer_load_dword v200, v1, s[16:19], 0 idxen              // 000000004EC4: E0502000 8004C801
	buffer_load_dword v201, v2, s[16:19], 0 idxen              // 000000004ECC: E0502000 8004C902
	s_mul_i32 s60, 16, s7                                      // 000000004ED4: 923C0790
	s_cmp_lt_i32 2, s72                                        // 000000004ED8: BF044882
	s_cselect_b32 s60, s60, 0                                  // 000000004EDC: 853C803C
	s_add_u32 s16, s60, s16                                    // 000000004EE0: 8010103C
	s_addc_u32 s17, 0, s17                                     // 000000004EE4: 82111180
	buffer_load_dword v202, v1, s[16:19], 0 idxen              // 000000004EE8: E0502000 8004CA01
	buffer_load_dword v203, v2, s[16:19], 0 idxen              // 000000004EF0: E0502000 8004CB02
	s_mul_i32 s60, 16, s7                                      // 000000004EF8: 923C0790
	s_cmp_lt_i32 3, s72                                        // 000000004EFC: BF044883
	s_cselect_b32 s60, s60, 0                                  // 000000004F00: 853C803C
	s_add_u32 s16, s60, s16                                    // 000000004F04: 8010103C
	s_addc_u32 s17, 0, s17                                     // 000000004F08: 82111180
	s_waitcnt lgkmcnt(0)                                       // 000000004F0C: BF8CC07F
	s_barrier                                                  // 000000004F10: BF8A0000
	ds_read_b128 a[56:59], v25 offset:8704                     // 000000004F14: DBFE2200 38000019
	ds_read_b128 a[60:63], v25 offset:8960                     // 000000004F1C: DBFE2300 3C000019
	ds_read_b128 a[64:67], v25 offset:13056                    // 000000004F24: DBFE3300 40000019
	ds_read_b128 a[68:71], v25 offset:13312                    // 000000004F2C: DBFE3400 44000019
	ds_read_b128 a[16:19], v24                                 // 000000004F34: DBFE0000 10000018
	ds_read_b128 a[20:23], v24 offset:512                      // 000000004F3C: DBFE0200 14000018
	s_waitcnt vmcnt(16) lgkmcnt(0)                             // 000000004F44: BF8C4070
	s_barrier                                                  // 000000004F48: BF8A0000
	s_cmp_lt_i32 0, s72                                        // 000000004F4C: BF044880
	s_cbranch_scc1 label_03DD                                  // 000000004F50: BF850008
	v_mov_b32_e32 v180, 0                                      // 000000004F54: 7F680280
	v_mov_b32_e32 v181, 0                                      // 000000004F58: 7F6A0280
	v_mov_b32_e32 v182, 0                                      // 000000004F5C: 7F6C0280
	v_mov_b32_e32 v183, 0                                      // 000000004F60: 7F6E0280
	v_mov_b32_e32 v184, 0                                      // 000000004F64: 7F700280
	v_mov_b32_e32 v185, 0                                      // 000000004F68: 7F720280
	v_mov_b32_e32 v186, 0                                      // 000000004F6C: 7F740280
	v_mov_b32_e32 v187, 0                                      // 000000004F70: 7F760280

0000000000004f74 <label_03DD>:
	ds_write_b32 v13, v180                                     // 000000004F74: D81A0000 0000B40D
	ds_write_b32 v13, v181 offset:1056                         // 000000004F7C: D81A0420 0000B50D
	ds_write_b32 v13, v182 offset:2176                         // 000000004F84: D81A0880 0000B60D
	ds_write_b32 v13, v183 offset:3232                         // 000000004F8C: D81A0CA0 0000B70D
	ds_write_b32 v13, v184 offset:4352                         // 000000004F94: D81A1100 0000B80D
	ds_write_b32 v13, v185 offset:5408                         // 000000004F9C: D81A1520 0000B90D
	ds_write_b32 v13, v186 offset:6528                         // 000000004FA4: D81A1980 0000BA0D
	ds_write_b32 v13, v187 offset:7584                         // 000000004FAC: D81A1DA0 0000BB0D
	s_mov_b32 s71, s70                                         // 000000004FB4: BEC70046
	v_lshrrev_b32_e32 v32, 4, v0                               // 000000004FB8: 20400084
	v_and_b32_e32 v33, 1, v32                                  // 000000004FBC: 26424081
	v_lshlrev_b32_e32 v33, 1, v33                              // 000000004FC0: 24424281
	v_mul_i32_i24_e32 v33, s71, v33                            // 000000004FC4: 0C424247
	v_and_b32_e32 v34, 2, v32                                  // 000000004FC8: 26444082
	v_lshlrev_b32_e32 v34, 5, v34                              // 000000004FCC: 24444485
	v_add_u32_e32 v33, v34, v33                                // 000000004FD0: 68424322
	v_and_b32_e32 v32, 15, v0                                  // 000000004FD4: 2640008F
	v_lshlrev_b32_e32 v32, 2, v32                              // 000000004FD8: 24404082
	v_add_u32_e32 v1, v32, v33                                 // 000000004FDC: 68024320
	s_mul_i32 s60, s47, s71                                    // 000000004FE0: 923C472F
	s_mul_i32 s60, s60, 4                                      // 000000004FE4: 923C843C
	v_add_u32_e32 v1, s60, v1                                  // 000000004FE8: 6802023C
	v_add_u32_e32 v2, s71, v1                                  // 000000004FEC: 68040247
	s_mul_i32 s60, 16, s71                                     // 000000004FF0: 923C4790
	v_add_u32_e32 v3, s60, v1                                  // 000000004FF4: 6806023C
	v_add_u32_e32 v4, s60, v2                                  // 000000004FF8: 6808043C
	v_lshrrev_b32_e32 v1, 2, v1                                // 000000004FFC: 20020282
	v_lshrrev_b32_e32 v2, 2, v2                                // 000000005000: 20040482
	v_lshrrev_b32_e32 v3, 2, v3                                // 000000005004: 20060682
	;; [unrolled: 1-line block ×3, first 2 shown]
	buffer_load_dword v36, v1, s[8:11], 0 idxen                // 00000000500C: E0502000 80022401
	buffer_load_dword v37, v2, s[8:11], 0 idxen                // 000000005014: E0502000 80022502
	buffer_load_dword v38, v3, s[8:11], 0 idxen                // 00000000501C: E0502000 80022603
	buffer_load_dword v39, v4, s[8:11], 0 idxen                // 000000005024: E0502000 80022704
	buffer_load_dword v44, v1, s[20:23], 0 idxen               // 00000000502C: E0502000 80052C01
	buffer_load_dword v45, v2, s[20:23], 0 idxen               // 000000005034: E0502000 80052D02
	buffer_load_dword v46, v3, s[20:23], 0 idxen               // 00000000503C: E0502000 80052E03
	buffer_load_dword v47, v4, s[20:23], 0 idxen               // 000000005044: E0502000 80052F04
	s_waitcnt lgkmcnt(0)                                       // 00000000504C: BF8CC07F
	s_barrier                                                  // 000000005050: BF8A0000
	ds_read_b128 a[72:75], v24                                 // 000000005054: DBFE0000 48000018
	ds_read_b128 a[76:79], v24 offset:512                      // 00000000505C: DBFE0200 4C000018
	s_add_u32 s8, s68, s8                                      // 000000005064: 80080844
	s_addc_u32 s9, 0, s9                                       // 000000005068: 82090980
	s_add_u32 s20, s68, s20                                    // 00000000506C: 80141444
	s_addc_u32 s21, 0, s21                                     // 000000005070: 82151580
	s_waitcnt vmcnt(16) lgkmcnt(0)                             // 000000005074: BF8C4070
	s_barrier                                                  // 000000005078: BF8A0000
	s_cmp_lt_i32 1, s72                                        // 00000000507C: BF044881
	s_cbranch_scc1 label_0429                                  // 000000005080: BF850008
	v_mov_b32_e32 v188, 0                                      // 000000005084: 7F780280
	v_mov_b32_e32 v189, 0                                      // 000000005088: 7F7A0280
	v_mov_b32_e32 v190, 0                                      // 00000000508C: 7F7C0280
	v_mov_b32_e32 v191, 0                                      // 000000005090: 7F7E0280
	v_mov_b32_e32 v192, 0                                      // 000000005094: 7F800280
	v_mov_b32_e32 v193, 0                                      // 000000005098: 7F820280
	v_mov_b32_e32 v194, 0                                      // 00000000509C: 7F840280
	v_mov_b32_e32 v195, 0                                      // 0000000050A0: 7F860280

00000000000050a4 <label_0429>:
	ds_write_b32 v13, v188                                     // 0000000050A4: D81A0000 0000BC0D
	ds_write_b32 v13, v189 offset:1056                         // 0000000050AC: D81A0420 0000BD0D
	ds_write_b32 v13, v190 offset:2176                         // 0000000050B4: D81A0880 0000BE0D
	ds_write_b32 v13, v191 offset:3232                         // 0000000050BC: D81A0CA0 0000BF0D
	ds_write_b32 v13, v192 offset:4352                         // 0000000050C4: D81A1100 0000C00D
	ds_write_b32 v13, v193 offset:5408                         // 0000000050CC: D81A1520 0000C10D
	ds_write_b32 v13, v194 offset:6528                         // 0000000050D4: D81A1980 0000C20D
	ds_write_b32 v13, v195 offset:7584                         // 0000000050DC: D81A1DA0 0000C30D
	buffer_load_dword v40, v1, s[8:11], 0 idxen                // 0000000050E4: E0502000 80022801
	buffer_load_dword v41, v2, s[8:11], 0 idxen                // 0000000050EC: E0502000 80022902
	buffer_load_dword v42, v3, s[8:11], 0 idxen                // 0000000050F4: E0502000 80022A03
	buffer_load_dword v43, v4, s[8:11], 0 idxen                // 0000000050FC: E0502000 80022B04
	buffer_load_dword v48, v1, s[20:23], 0 idxen               // 000000005104: E0502000 80053001
	buffer_load_dword v49, v2, s[20:23], 0 idxen               // 00000000510C: E0502000 80053102
	buffer_load_dword v50, v3, s[20:23], 0 idxen               // 000000005114: E0502000 80053203
	buffer_load_dword v51, v4, s[20:23], 0 idxen               // 00000000511C: E0502000 80053304
	s_waitcnt lgkmcnt(0)                                       // 000000005124: BF8CC07F
	s_barrier                                                  // 000000005128: BF8A0000
	ds_read_b128 a[80:83], v24                                 // 00000000512C: DBFE0000 50000018
	ds_read_b128 a[84:87], v24 offset:512                      // 000000005134: DBFE0200 54000018
	s_add_u32 s60, 64, s59                                     // 00000000513C: 803C3BC0
	s_cmp_lt_u32 s60, s58                                      // 000000005140: BF0A3A3C
	s_cselect_b32 s68, s68, 0                                  // 000000005144: 85448044
	s_add_u32 s8, s68, s8                                      // 000000005148: 80080844
	s_addc_u32 s9, 0, s9                                       // 00000000514C: 82090980
	s_add_u32 s20, s68, s20                                    // 000000005150: 80141444
	s_addc_u32 s21, 0, s21                                     // 000000005154: 82151580
	s_waitcnt vmcnt(16) lgkmcnt(0)                             // 000000005158: BF8C4070
	s_barrier                                                  // 00000000515C: BF8A0000
	s_cmp_lt_i32 2, s72                                        // 000000005160: BF044882
	s_cbranch_scc1 label_0462                                  // 000000005164: BF850008
	v_mov_b32_e32 v196, 0                                      // 000000005168: 7F880280
	v_mov_b32_e32 v197, 0                                      // 00000000516C: 7F8A0280
	v_mov_b32_e32 v198, 0                                      // 000000005170: 7F8C0280
	v_mov_b32_e32 v199, 0                                      // 000000005174: 7F8E0280
	v_mov_b32_e32 v200, 0                                      // 000000005178: 7F900280
	v_mov_b32_e32 v201, 0                                      // 00000000517C: 7F920280
	v_mov_b32_e32 v202, 0                                      // 000000005180: 7F940280
	v_mov_b32_e32 v203, 0                                      // 000000005184: 7F960280

0000000000005188 <label_0462>:
	ds_write_b32 v13, v196                                     // 000000005188: D81A0000 0000C40D
	ds_write_b32 v13, v197 offset:1056                         // 000000005190: D81A0420 0000C50D
	ds_write_b32 v13, v198 offset:2176                         // 000000005198: D81A0880 0000C60D
	ds_write_b32 v13, v199 offset:3232                         // 0000000051A0: D81A0CA0 0000C70D
	ds_write_b32 v13, v200 offset:4352                         // 0000000051A8: D81A1100 0000C80D
	ds_write_b32 v13, v201 offset:5408                         // 0000000051B0: D81A1520 0000C90D
	ds_write_b32 v13, v202 offset:6528                         // 0000000051B8: D81A1980 0000CA0D
	ds_write_b32 v13, v203 offset:7584                         // 0000000051C0: D81A1DA0 0000CB0D
	s_waitcnt lgkmcnt(0)                                       // 0000000051C8: BF8CC07F
	s_barrier                                                  // 0000000051CC: BF8A0000
	ds_read_b128 a[88:91], v24                                 // 0000000051D0: DBFE0000 58000018
	ds_read_b128 a[92:95], v24 offset:512                      // 0000000051D8: DBFE0200 5C000018
	s_waitcnt vmcnt(8) lgkmcnt(0)                              // 0000000051E0: BF8C0078
	s_barrier                                                  // 0000000051E4: BF8A0000
	buffer_load_dword v11, s[24:27], 0 idxen lds               // 0000000051E8: E0512000 8006000B
	s_mov_b32 m0, s79                                          // 0000000051F0: BEFC004F
	v_add_u32_e32 v11, s69, v11                                // 0000000051F4: 68161645
	v_perm_b32 v100, v37, v36, s63                             // 0000000051F8: D1ED0064 00FE4925
	v_perm_b32 v101, v37, v36, s64                             // 000000005200: D1ED0065 01024925
	v_perm_b32 v102, v39, v38, s63                             // 000000005208: D1ED0066 00FE4D27
	v_perm_b32 v103, v39, v38, s64                             // 000000005210: D1ED0067 01024D27
	ds_write_b32 v15, v100 offset:4352                         // 000000005218: D81A1100 0000640F
	ds_write_b32 v15, v101 offset:5408                         // 000000005220: D81A1520 0000650F
	ds_write_b32 v15, v102 offset:6528                         // 000000005228: D81A1980 0000660F
	ds_write_b32 v15, v103 offset:7584                         // 000000005230: D81A1DA0 0000670F
	ds_write_b32 v13, v36                                      // 000000005238: D81A0000 0000240D
	ds_write_b32 v13, v37 offset:1056                          // 000000005240: D81A0420 0000250D
	ds_write_b32 v13, v38 offset:2176                          // 000000005248: D81A0880 0000260D
	ds_write_b32 v13, v39 offset:3232                          // 000000005250: D81A0CA0 0000270D
	buffer_load_dword v11, s[24:27], 0 idxen lds               // 000000005258: E0512000 8006000B
	s_add_u32 s60, 64, s59                                     // 000000005260: 803C3BC0
	s_cmp_lt_u32 s60, s58                                      // 000000005264: BF0A3A3C
	s_cselect_b32 s69, s69, 0                                  // 000000005268: 85458045
	s_mov_b32 m0, s78                                          // 00000000526C: BEFC004E
	v_add_u32_e32 v11, s69, v11                                // 000000005270: 68161645
	v_perm_b32 v104, v45, v44, s63                             // 000000005274: D1ED0068 00FE592D
	v_perm_b32 v105, v45, v44, s64                             // 00000000527C: D1ED0069 0102592D
	v_perm_b32 v106, v47, v46, s63                             // 000000005284: D1ED006A 00FE5D2F
	v_perm_b32 v107, v47, v46, s64                             // 00000000528C: D1ED006B 01025D2F
	ds_write_b32 v15, v104 offset:13056                        // 000000005294: D81A3300 0000680F
	ds_write_b32 v15, v105 offset:14112                        // 00000000529C: D81A3720 0000690F
	ds_write_b32 v15, v106 offset:15232                        // 0000000052A4: D81A3B80 00006A0F
	ds_write_b32 v15, v107 offset:16288                        // 0000000052AC: D81A3FA0 00006B0F
	ds_write_b32 v13, v44 offset:8704                          // 0000000052B4: D81A2200 00002C0D
	ds_write_b32 v13, v45 offset:9760                          // 0000000052BC: D81A2620 00002D0D
	ds_write_b32 v13, v46 offset:10880                         // 0000000052C4: D81A2A80 00002E0D
	ds_write_b32 v13, v47 offset:11936                         // 0000000052CC: D81A2EA0 00002F0D
	s_waitcnt vmcnt(1) lgkmcnt(0)                              // 0000000052D4: BF8C0071
	s_barrier                                                  // 0000000052D8: BF8A0000
	ds_read_b128 a[96:99], v12                                 // 0000000052DC: DBFE0000 6000000C
	ds_read_b128 a[100:103], v12 offset:512                    // 0000000052E4: DBFE0200 6400000C
	ds_read_b128 a[104:107], v12 offset:2176                   // 0000000052EC: DBFE0880 6800000C
	ds_read_b128 a[108:111], v12 offset:2688                   // 0000000052F4: DBFE0A80 6C00000C
	ds_read_b128 v[108:111], v12 offset:8704                   // 0000000052FC: D9FE2200 6C00000C
	ds_read_b128 v[112:115], v12 offset:9216                   // 000000005304: D9FE2400 7000000C
	ds_read_b128 v[116:119], v12 offset:10880                  // 00000000530C: D9FE2A80 7400000C
	ds_read_b128 v[120:123], v12 offset:11392                  // 000000005314: D9FE2C80 7800000C
	ds_read_b32 v140, v23 offset:35584                         // 00000000531C: D86C8B00 8C000017
	ds_read_b32 v144, v23 offset:35648                         // 000000005324: D86C8B40 90000017
	ds_read_b32 v176, v23 offset:35840                         // 00000000532C: D86C8C00 B0000017
	ds_read_b32 v177, v23 offset:35904                         // 000000005334: D86C8C40 B1000017
	v_accvgpr_write_b32 a112, 0                                // 00000000533C: D3D94070 18000080
	v_mov_b32_e32 v180, 0                                      // 000000005344: 7F680280
	v_accvgpr_write_b32 a113, 0                                // 000000005348: D3D94071 18000080
	v_mov_b32_e32 v181, 0                                      // 000000005350: 7F6A0280
	v_accvgpr_write_b32 a114, 0                                // 000000005354: D3D94072 18000080
	v_mov_b32_e32 v182, 0                                      // 00000000535C: 7F6C0280
	v_accvgpr_write_b32 a115, 0                                // 000000005360: D3D94073 18000080
	v_mov_b32_e32 v183, 0                                      // 000000005368: 7F6E0280
	v_accvgpr_write_b32 a116, 0                                // 00000000536C: D3D94074 18000080
	v_mov_b32_e32 v184, 0                                      // 000000005374: 7F700280
	v_accvgpr_write_b32 a117, 0                                // 000000005378: D3D94075 18000080
	v_mov_b32_e32 v185, 0                                      // 000000005380: 7F720280
	v_accvgpr_write_b32 a118, 0                                // 000000005384: D3D94076 18000080
	v_mov_b32_e32 v186, 0                                      // 00000000538C: 7F740280
	v_accvgpr_write_b32 a119, 0                                // 000000005390: D3D94077 18000080
	v_mov_b32_e32 v187, 0                                      // 000000005398: 7F760280
	v_accvgpr_write_b32 a120, 0                                // 00000000539C: D3D94078 18000080
	v_mov_b32_e32 v188, 0                                      // 0000000053A4: 7F780280
	v_accvgpr_write_b32 a121, 0                                // 0000000053A8: D3D94079 18000080
	v_mov_b32_e32 v189, 0                                      // 0000000053B0: 7F7A0280
	v_accvgpr_write_b32 a122, 0                                // 0000000053B4: D3D9407A 18000080
	v_mov_b32_e32 v190, 0                                      // 0000000053BC: 7F7C0280
	v_accvgpr_write_b32 a123, 0                                // 0000000053C0: D3D9407B 18000080
	v_mov_b32_e32 v191, 0                                      // 0000000053C8: 7F7E0280
	v_accvgpr_write_b32 a124, 0                                // 0000000053CC: D3D9407C 18000080
	v_mov_b32_e32 v192, 0                                      // 0000000053D4: 7F800280
	v_accvgpr_write_b32 a125, 0                                // 0000000053D8: D3D9407D 18000080
	v_mov_b32_e32 v193, 0                                      // 0000000053E0: 7F820280
	v_accvgpr_write_b32 a126, 0                                // 0000000053E4: D3D9407E 18000080
	v_mov_b32_e32 v194, 0                                      // 0000000053EC: 7F840280
	v_accvgpr_write_b32 a127, 0                                // 0000000053F0: D3D9407F 18000080
	v_mov_b32_e32 v195, 0                                      // 0000000053F8: 7F860280
	v_accvgpr_write_b32 a128, 0                                // 0000000053FC: D3D94080 18000080
	v_mov_b32_e32 v196, 0                                      // 000000005404: 7F880280
	v_accvgpr_write_b32 a129, 0                                // 000000005408: D3D94081 18000080
	v_mov_b32_e32 v197, 0                                      // 000000005410: 7F8A0280
	v_accvgpr_write_b32 a130, 0                                // 000000005414: D3D94082 18000080
	v_mov_b32_e32 v198, 0                                      // 00000000541C: 7F8C0280
	v_accvgpr_write_b32 a131, 0                                // 000000005420: D3D94083 18000080
	v_mov_b32_e32 v199, 0                                      // 000000005428: 7F8E0280
	v_accvgpr_write_b32 a132, 0                                // 00000000542C: D3D94084 18000080
	v_mov_b32_e32 v200, 0                                      // 000000005434: 7F900280
	v_accvgpr_write_b32 a133, 0                                // 000000005438: D3D94085 18000080
	v_mov_b32_e32 v201, 0                                      // 000000005440: 7F920280
	v_accvgpr_write_b32 a134, 0                                // 000000005444: D3D94086 18000080
	v_mov_b32_e32 v202, 0                                      // 00000000544C: 7F940280
	v_accvgpr_write_b32 a135, 0                                // 000000005450: D3D94087 18000080
	v_mov_b32_e32 v203, 0                                      // 000000005458: 7F960280
	v_accvgpr_write_b32 a136, 0                                // 00000000545C: D3D94088 18000080
	v_mov_b32_e32 v204, 0                                      // 000000005464: 7F980280
	v_accvgpr_write_b32 a137, 0                                // 000000005468: D3D94089 18000080
	v_mov_b32_e32 v205, 0                                      // 000000005470: 7F9A0280
	v_accvgpr_write_b32 a138, 0                                // 000000005474: D3D9408A 18000080
	v_mov_b32_e32 v206, 0                                      // 00000000547C: 7F9C0280
	v_accvgpr_write_b32 a139, 0                                // 000000005480: D3D9408B 18000080
	v_mov_b32_e32 v207, 0                                      // 000000005488: 7F9E0280
	v_accvgpr_write_b32 a140, 0                                // 00000000548C: D3D9408C 18000080
	v_mov_b32_e32 v208, 0                                      // 000000005494: 7FA00280
	v_accvgpr_write_b32 a141, 0                                // 000000005498: D3D9408D 18000080
	v_mov_b32_e32 v209, 0                                      // 0000000054A0: 7FA20280
	v_accvgpr_write_b32 a142, 0                                // 0000000054A4: D3D9408E 18000080
	v_mov_b32_e32 v210, 0                                      // 0000000054AC: 7FA40280
	v_accvgpr_write_b32 a143, 0                                // 0000000054B0: D3D9408F 18000080
	v_mov_b32_e32 v211, 0                                      // 0000000054B8: 7FA60280
	v_accvgpr_write_b32 a144, 0                                // 0000000054BC: D3D94090 18000080
	v_mov_b32_e32 v212, 0                                      // 0000000054C4: 7FA80280
	v_accvgpr_write_b32 a145, 0                                // 0000000054C8: D3D94091 18000080
	v_mov_b32_e32 v213, 0                                      // 0000000054D0: 7FAA0280
	v_accvgpr_write_b32 a146, 0                                // 0000000054D4: D3D94092 18000080
	v_mov_b32_e32 v214, 0                                      // 0000000054DC: 7FAC0280
	v_accvgpr_write_b32 a147, 0                                // 0000000054E0: D3D94093 18000080
	v_mov_b32_e32 v215, 0                                      // 0000000054E8: 7FAE0280
	v_accvgpr_write_b32 a148, 0                                // 0000000054EC: D3D94094 18000080
	v_mov_b32_e32 v216, 0                                      // 0000000054F4: 7FB00280
	v_accvgpr_write_b32 a149, 0                                // 0000000054F8: D3D94095 18000080
	v_mov_b32_e32 v217, 0                                      // 000000005500: 7FB20280
	v_accvgpr_write_b32 a150, 0                                // 000000005504: D3D94096 18000080
	v_mov_b32_e32 v218, 0                                      // 00000000550C: 7FB40280
	v_accvgpr_write_b32 a151, 0                                // 000000005510: D3D94097 18000080
	v_mov_b32_e32 v219, 0                                      // 000000005518: 7FB60280
	v_accvgpr_write_b32 a152, 0                                // 00000000551C: D3D94098 18000080
	v_mov_b32_e32 v220, 0                                      // 000000005524: 7FB80280
	v_accvgpr_write_b32 a153, 0                                // 000000005528: D3D94099 18000080
	v_mov_b32_e32 v221, 0                                      // 000000005530: 7FBA0280
	v_accvgpr_write_b32 a154, 0                                // 000000005534: D3D9409A 18000080
	v_mov_b32_e32 v222, 0                                      // 00000000553C: 7FBC0280
	v_accvgpr_write_b32 a155, 0                                // 000000005540: D3D9409B 18000080
	v_mov_b32_e32 v223, 0                                      // 000000005548: 7FBE0280
	v_accvgpr_write_b32 a156, 0                                // 00000000554C: D3D9409C 18000080
	v_mov_b32_e32 v224, 0                                      // 000000005554: 7FC00280
	v_accvgpr_write_b32 a157, 0                                // 000000005558: D3D9409D 18000080
	v_mov_b32_e32 v225, 0                                      // 000000005560: 7FC20280
	v_accvgpr_write_b32 a158, 0                                // 000000005564: D3D9409E 18000080
	v_mov_b32_e32 v226, 0                                      // 00000000556C: 7FC40280
	v_accvgpr_write_b32 a159, 0                                // 000000005570: D3D9409F 18000080
	v_mov_b32_e32 v227, 0                                      // 000000005578: 7FC60280
	v_mov_b32_e32 v156, 0                                      // 00000000557C: 7F380280
	v_mov_b32_e32 v157, 0                                      // 000000005580: 7F3A0280
	v_mov_b32_e32 v158, 0                                      // 000000005584: 7F3C0280
	v_mov_b32_e32 v159, 0                                      // 000000005588: 7F3E0280
	v_mov_b32_e32 v160, 0                                      // 00000000558C: 7F400280
	v_mov_b32_e32 v161, 0                                      // 000000005590: 7F420280
	v_mov_b32_e32 v162, 0                                      // 000000005594: 7F440280
	v_mov_b32_e32 v163, 0                                      // 000000005598: 7F460280
	v_mov_b32_e32 v148, 0                                      // 00000000559C: 7F280280
	v_mov_b32_e32 v149, 0                                      // 0000000055A0: 7F2A0280
	v_mov_b32_e32 v150, 0                                      // 0000000055A4: 7F2C0280
	v_mov_b32_e32 v151, 0                                      // 0000000055A8: 7F2E0280
	v_mov_b32_e32 v152, 0                                      // 0000000055AC: 7F300280
	v_mov_b32_e32 v153, 0                                      // 0000000055B0: 7F320280
	v_mov_b32_e32 v154, 0                                      // 0000000055B4: 7F340280
	v_mov_b32_e32 v155, 0                                      // 0000000055B8: 7F360280
	s_waitcnt lgkmcnt(0)                                       // 0000000055BC: BF8CC07F
	s_barrier                                                  // 0000000055C0: BF8A0000
	buffer_load_dword v36, v1, s[8:11], 0 idxen                // 0000000055C4: E0502000 80022401
	buffer_load_dword v37, v2, s[8:11], 0 idxen                // 0000000055CC: E0502000 80022502
	buffer_load_dword v38, v3, s[8:11], 0 idxen                // 0000000055D4: E0502000 80022603
	buffer_load_dword v39, v4, s[8:11], 0 idxen                // 0000000055DC: E0502000 80022704
	buffer_load_dword v44, v1, s[20:23], 0 idxen               // 0000000055E4: E0502000 80052C01
	buffer_load_dword v45, v2, s[20:23], 0 idxen               // 0000000055EC: E0502000 80052D02
	buffer_load_dword v46, v3, s[20:23], 0 idxen               // 0000000055F4: E0502000 80052E03
	buffer_load_dword v47, v4, s[20:23], 0 idxen               // 0000000055FC: E0502000 80052F04
	buffer_load_dword v11, s[24:27], 0 idxen lds               // 000000005604: E0512000 8006000B
	s_add_u32 s60, 0x60, s59                                   // 00000000560C: 803C3BFF 00000060
	s_cmp_lt_u32 s60, s58                                      // 000000005614: BF0A3A3C
	s_cselect_b32 s68, s68, 0                                  // 000000005618: 85448044
	s_cselect_b32 s69, s69, 0                                  // 00000000561C: 85458045
	s_mov_b32 m0, s79                                          // 000000005620: BEFC004F
	v_add_u32_e32 v11, s69, v11                                // 000000005624: 68161645
	s_add_u32 s8, s68, s8                                      // 000000005628: 80080844
	s_addc_u32 s9, 0, s9                                       // 00000000562C: 82090980
	s_add_u32 s20, s68, s20                                    // 000000005630: 80141444
	s_addc_u32 s21, 0, s21                                     // 000000005634: 82151580
	v_mul_f32_e32 v140, s49, v140                              // 000000005638: 0B191831
	v_mul_f32_e32 v144, s49, v144                              // 00000000563C: 0B212031
	v_perm_b32 v100, v41, v40, s63                             // 000000005640: D1ED0064 00FE5129
	v_perm_b32 v101, v41, v40, s64                             // 000000005648: D1ED0065 01025129
	v_perm_b32 v102, v43, v42, s63                             // 000000005650: D1ED0066 00FE552B
	v_perm_b32 v103, v43, v42, s64                             // 000000005658: D1ED0067 0102552B
	v_perm_b32 v104, v49, v48, s63                             // 000000005660: D1ED0068 00FE6131
	v_perm_b32 v105, v49, v48, s64                             // 000000005668: D1ED0069 01026131
	v_perm_b32 v106, v51, v50, s63                             // 000000005670: D1ED006A 00FE6533
	v_perm_b32 v107, v51, v50, s64                             // 000000005678: D1ED006B 01026533
	v_mov_b32_dpp v143, v140 quad_perm:[3,3,3,3] row_mask:0xf bank_mask:0xf// 000000005680: 7F1E02FA FF00FF8C
	v_mov_b32_dpp v142, v140 quad_perm:[2,2,2,2] row_mask:0xf bank_mask:0xf// 000000005688: 7F1C02FA FF00AA8C
	v_mov_b32_dpp v141, v140 quad_perm:[1,1,1,1] row_mask:0xf bank_mask:0xf// 000000005690: 7F1A02FA FF00558C
	v_mov_b32_dpp v140, v140 quad_perm:[0,0,0,0] row_mask:0xf bank_mask:0xf// 000000005698: 7F1802FA FF00008C
	v_mov_b32_dpp v147, v144 quad_perm:[3,3,3,3] row_mask:0xf bank_mask:0xf// 0000000056A0: 7F2602FA FF00FF90
	v_mov_b32_dpp v146, v144 quad_perm:[2,2,2,2] row_mask:0xf bank_mask:0xf// 0000000056A8: 7F2402FA FF00AA90
	v_mov_b32_dpp v145, v144 quad_perm:[1,1,1,1] row_mask:0xf bank_mask:0xf// 0000000056B0: 7F2202FA FF005590
	v_mov_b32_dpp v144, v144 quad_perm:[0,0,0,0] row_mask:0xf bank_mask:0xf// 0000000056B8: 7F2002FA FF000090
	s_waitcnt vmcnt(9)                                         // 0000000056C0: BF8C0F79
	s_barrier                                                  // 0000000056C4: BF8A0000
	s_cmp_lt_i32 s47, 2                                        // 0000000056C8: BF04822F
	s_cbranch_scc0 label_0D19                                  // 0000000056CC: BF840765
	s_nop 0                                                    // 0000000056D0: BF800000
	s_nop 0                                                    // 0000000056D4: BF800000
	s_nop 0                                                    // 0000000056D8: BF800000

00000000000056dc <label_05B7>:
	s_waitcnt lgkmcnt(4)                                       // 0000000056DC: BF8CC47F
	s_barrier                                                  // 0000000056E0: BF8A0000
	v_mfma_f32_16x16x16_f16 v[52:55], a[96:97], a[0:1], 0      // 0000000056E4: D3CD0034 1A020160
	ds_write_b32 v13, v48 offset:8704                          // 0000000056EC: D81A2200 0000300D
	ds_write_b32 v13, v49 offset:9760                          // 0000000056F4: D81A2620 0000310D
	v_mfma_f32_16x16x16_f16 v[52:55], a[98:99], a[2:3], v[52:55]// 0000000056FC: D3CD0034 1CD20562
	v_mul_f32_e32 v148, s48, v148                              // 000000005704: 0B292830
	v_mul_f32_e32 v149, s48, v149                              // 000000005708: 0B2B2A30
	v_mfma_f32_16x16x16_f16 v[52:55], a[100:101], a[4:5], v[52:55]// 00000000570C: D3CD0034 1CD20964
	ds_write_b32 v13, v50 offset:10880                         // 000000005714: D81A2A80 0000320D
	ds_write_b32 v13, v51 offset:11936                         // 00000000571C: D81A2EA0 0000330D
	v_mfma_f32_16x16x16_f16 v[52:55], a[102:103], a[6:7], v[52:55]// 000000005724: D3CD0034 1CD20D66
	v_mul_f32_e32 v150, s48, v150                              // 00000000572C: 0B2D2C30
	v_mul_f32_e32 v151, s48, v151                              // 000000005730: 0B2F2E30
	v_mfma_f32_16x16x16_f16 v[56:59], a[96:97], a[8:9], 0      // 000000005734: D3CD0038 1A021160
	v_mul_f32_e32 v152, s48, v152                              // 00000000573C: 0B313030
	v_mul_f32_e32 v153, s48, v153                              // 000000005740: 0B333230
	v_mfma_f32_16x16x16_f16 v[56:59], a[98:99], a[10:11], v[56:59]// 000000005744: D3CD0038 1CE21562
	v_mul_f32_e32 v154, s48, v154                              // 00000000574C: 0B353430
	v_mul_f32_e32 v155, s48, v155                              // 000000005750: 0B373630
	v_mfma_f32_16x16x16_f16 v[56:59], a[100:101], a[12:13], v[56:59]// 000000005754: D3CD0038 1CE21964
	v_cvt_pkrtz_f16_f32 v148, v148, v149                       // 00000000575C: D2960094 00032B94
	v_cvt_pkrtz_f16_f32 v149, v150, v151                       // 000000005764: D2960095 00032F96
	v_mfma_f32_16x16x16_f16 v[56:59], a[102:103], a[14:15], v[56:59]// 00000000576C: D3CD0038 1CE21D66
	v_cvt_pkrtz_f16_f32 v150, v152, v153                       // 000000005774: D2960096 00033398
	v_cvt_pkrtz_f16_f32 v151, v154, v155                       // 00000000577C: D2960097 0003379A
	v_mfma_f32_16x16x16_f16 v[60:63], a[96:97], a[16:17], 0    // 000000005784: D3CD003C 1A022160
	ds_write_b64 v22, v[148:149] offset:31232                  // 00000000578C: D89A7A00 00009416
	v_mfma_f32_16x16x16_f16 v[60:63], a[98:99], a[18:19], v[60:63]// 000000005794: D3CD003C 1CF22562
	v_mfma_f32_16x16x16_f16 v[60:63], a[100:101], a[20:21], v[60:63]// 00000000579C: D3CD003C 1CF22964
	ds_write_b64 v22, v[150:151] offset:31776                  // 0000000057A4: D89A7C20 00009616
	v_mfma_f32_16x16x16_f16 v[60:63], a[102:103], a[22:23], v[60:63]// 0000000057AC: D3CD003C 1CF22D66
	v_mfma_f32_16x16x16_f16 v[64:67], a[104:105], a[0:1], 0    // 0000000057B4: D3CD0040 1A020168
	ds_read_b128 v[124:127], v14 offset:13056                  // 0000000057BC: D9FE3300 7C00000E
	ds_write_b32 v13, v40                                      // 0000000057C4: D81A0000 0000280D
	v_mfma_f32_16x16x16_f16 v[64:67], a[106:107], a[2:3], v[64:67]// 0000000057CC: D3CD0040 1D02056A
	v_mfma_f32_16x16x16_f16 v[64:67], a[108:109], a[4:5], v[64:67]// 0000000057D4: D3CD0040 1D02096C
	v_mfma_f32_16x16x16_f16 v[64:67], a[110:111], a[6:7], v[64:67]// 0000000057DC: D3CD0040 1D020D6E
	ds_read_b128 v[128:131], v14 offset:13568                  // 0000000057E4: D9FE3500 8000000E
	ds_write_b32 v13, v41 offset:1056                          // 0000000057EC: D81A0420 0000290D
	v_mfma_f32_16x16x16_f16 v[68:71], a[104:105], a[8:9], 0    // 0000000057F4: D3CD0044 1A021168
	v_mfma_f32_16x16x16_f16 v[68:71], a[106:107], a[10:11], v[68:71]// 0000000057FC: D3CD0044 1D12156A
	v_mfma_f32_16x16x16_f16 v[68:71], a[108:109], a[12:13], v[68:71]// 000000005804: D3CD0044 1D12196C
	ds_read_b128 v[132:135], v14 offset:15232                  // 00000000580C: D9FE3B80 8400000E
	ds_write_b32 v13, v42 offset:2176                          // 000000005814: D81A0880 00002A0D
	v_mfma_f32_16x16x16_f16 v[68:71], a[110:111], a[14:15], v[68:71]// 00000000581C: D3CD0044 1D121D6E
	v_mfma_f32_16x16x16_f16 v[72:75], a[104:105], a[16:17], 0  // 000000005824: D3CD0048 1A022168
	v_mfma_f32_16x16x16_f16 v[72:75], a[106:107], a[18:19], v[72:75]// 00000000582C: D3CD0048 1D22256A
	ds_read_b128 v[136:139], v14 offset:15744                  // 000000005834: D9FE3D80 8800000E
	ds_write_b32 v13, v43 offset:3232                          // 00000000583C: D81A0CA0 00002B0D
	v_mfma_f32_16x16x16_f16 v[72:75], a[108:109], a[20:21], v[72:75]// 000000005844: D3CD0048 1D22296C
	v_mfma_f32_16x16x16_f16 v[72:75], a[110:111], a[22:23], v[72:75]// 00000000584C: D3CD0048 1D222D6E
	s_cmp_lt_i32 s74, 12                                       // 000000005854: BF048C4A
	s_cbranch_scc0 label_06FD                                  // 000000005858: BF8400E6
	s_mov_b32 s60, 0xffe0fffe                                  // 00000000585C: BEBC00FF FFE0FFFE
	s_mov_b32 s61, 0xe000fe00                                  // 000000005864: BEBD00FF E000FE00
	s_nop 0                                                    // 00000000586C: BF800000
	s_add_u32 s62, 0, s47                                      // 000000005870: 803E2F80
	s_cmp_lt_i32 s74, s62                                      // 000000005874: BF043E4A
	s_cbranch_scc1 label_0647                                  // 000000005878: BF850028
	s_cmp_eq_i32 s74, s62                                      // 00000000587C: BF003E4A
	s_cbranch_scc1 label_062C                                  // 000000005880: BF85000B
	s_add_u32 s62, 4, s47                                      // 000000005884: 803E2F84
	s_cmp_lt_i32 s74, s62                                      // 000000005888: BF043E4A
	s_cbranch_scc1 label_0667                                  // 00000000588C: BF850043
	s_cmp_eq_i32 s74, s62                                      // 000000005890: BF003E4A
	s_cbranch_scc1 label_064C                                  // 000000005894: BF850026
	s_add_u32 s62, 8, s47                                      // 000000005898: 803E2F88
	s_cmp_lt_i32 s74, s62                                      // 00000000589C: BF043E4A
	s_cbranch_scc1 label_0687                                  // 0000000058A0: BF85005E
	s_cmp_eq_i32 s74, s62                                      // 0000000058A4: BF003E4A
	s_cbranch_scc1 label_066C                                  // 0000000058A8: BF850041
	s_branch label_068C                                        // 0000000058AC: BF820060

00000000000058b0 <label_062C>:
	v_cndmask_b32_e64 v52, v52, v178, s[60:61]                 // 0000000058B0: D1000034 00F36534
	s_lshl_b32 s60, s60, 1                                     // 0000000058B8: 8E3C813C
	s_lshl_b32 s61, s61, 1                                     // 0000000058BC: 8E3D813D
	s_and_b32 s60, 0xfffeffff, s60                             // 0000000058C0: 863C3CFF FFFEFFFF
	s_and_b32 s61, 0xfffeffff, s61                             // 0000000058C8: 863D3DFF FFFEFFFF
	v_cndmask_b32_e64 v53, v53, v178, s[60:61]                 // 0000000058D0: D1000035 00F36535
	s_lshl_b32 s60, s60, 1                                     // 0000000058D8: 8E3C813C
	s_lshl_b32 s61, s61, 1                                     // 0000000058DC: 8E3D813D
	s_and_b32 s60, 0xfffeffff, s60                             // 0000000058E0: 863C3CFF FFFEFFFF
	s_and_b32 s61, 0xfffeffff, s61                             // 0000000058E8: 863D3DFF FFFEFFFF
	v_cndmask_b32_e64 v54, v54, v178, s[60:61]                 // 0000000058F0: D1000036 00F36536
	s_lshl_b32 s60, s60, 1                                     // 0000000058F8: 8E3C813C
	s_lshl_b32 s61, s61, 1                                     // 0000000058FC: 8E3D813D
	s_and_b32 s60, 0xfffeffff, s60                             // 000000005900: 863C3CFF FFFEFFFF
	s_and_b32 s61, 0xfffeffff, s61                             // 000000005908: 863D3DFF FFFEFFFF
	v_cndmask_b32_e64 v55, v55, v178, s[60:61]                 // 000000005910: D1000037 00F36537
	s_branch label_0667                                        // 000000005918: BF820020

000000000000591c <label_0647>:
	v_mov_b32_e32 v52, v178                                    // 00000000591C: 7E6803B2
	v_mov_b32_e32 v53, v178                                    // 000000005920: 7E6A03B2
	v_mov_b32_e32 v54, v178                                    // 000000005924: 7E6C03B2
	v_mov_b32_e32 v55, v178                                    // 000000005928: 7E6E03B2
	s_branch label_0667                                        // 00000000592C: BF82001B

0000000000005930 <label_064C>:
	v_cndmask_b32_e64 v56, v56, v178, s[60:61]                 // 000000005930: D1000038 00F36538
	s_lshl_b32 s60, s60, 1                                     // 000000005938: 8E3C813C
	s_lshl_b32 s61, s61, 1                                     // 00000000593C: 8E3D813D
	s_and_b32 s60, 0xfffeffff, s60                             // 000000005940: 863C3CFF FFFEFFFF
	s_and_b32 s61, 0xfffeffff, s61                             // 000000005948: 863D3DFF FFFEFFFF
	v_cndmask_b32_e64 v57, v57, v178, s[60:61]                 // 000000005950: D1000039 00F36539
	s_lshl_b32 s60, s60, 1                                     // 000000005958: 8E3C813C
	s_lshl_b32 s61, s61, 1                                     // 00000000595C: 8E3D813D
	s_and_b32 s60, 0xfffeffff, s60                             // 000000005960: 863C3CFF FFFEFFFF
	s_and_b32 s61, 0xfffeffff, s61                             // 000000005968: 863D3DFF FFFEFFFF
	v_cndmask_b32_e64 v58, v58, v178, s[60:61]                 // 000000005970: D100003A 00F3653A
	s_lshl_b32 s60, s60, 1                                     // 000000005978: 8E3C813C
	s_lshl_b32 s61, s61, 1                                     // 00000000597C: 8E3D813D
	s_and_b32 s60, 0xfffeffff, s60                             // 000000005980: 863C3CFF FFFEFFFF
	s_and_b32 s61, 0xfffeffff, s61                             // 000000005988: 863D3DFF FFFEFFFF
	v_cndmask_b32_e64 v59, v59, v178, s[60:61]                 // 000000005990: D100003B 00F3653B
	s_branch label_0687                                        // 000000005998: BF820020

000000000000599c <label_0667>:
	v_mov_b32_e32 v56, v178                                    // 00000000599C: 7E7003B2
	v_mov_b32_e32 v57, v178                                    // 0000000059A0: 7E7203B2
	v_mov_b32_e32 v58, v178                                    // 0000000059A4: 7E7403B2
	v_mov_b32_e32 v59, v178                                    // 0000000059A8: 7E7603B2
	s_branch label_0687                                        // 0000000059AC: BF82001B

00000000000059b0 <label_066C>:
	v_cndmask_b32_e64 v60, v60, v178, s[60:61]                 // 0000000059B0: D100003C 00F3653C
	s_lshl_b32 s60, s60, 1                                     // 0000000059B8: 8E3C813C
	s_lshl_b32 s61, s61, 1                                     // 0000000059BC: 8E3D813D
	s_and_b32 s60, 0xfffeffff, s60                             // 0000000059C0: 863C3CFF FFFEFFFF
	s_and_b32 s61, 0xfffeffff, s61                             // 0000000059C8: 863D3DFF FFFEFFFF
	v_cndmask_b32_e64 v61, v61, v178, s[60:61]                 // 0000000059D0: D100003D 00F3653D
	s_lshl_b32 s60, s60, 1                                     // 0000000059D8: 8E3C813C
	s_lshl_b32 s61, s61, 1                                     // 0000000059DC: 8E3D813D
	s_and_b32 s60, 0xfffeffff, s60                             // 0000000059E0: 863C3CFF FFFEFFFF
	s_and_b32 s61, 0xfffeffff, s61                             // 0000000059E8: 863D3DFF FFFEFFFF
	v_cndmask_b32_e64 v62, v62, v178, s[60:61]                 // 0000000059F0: D100003E 00F3653E
	s_lshl_b32 s60, s60, 1                                     // 0000000059F8: 8E3C813C
	s_lshl_b32 s61, s61, 1                                     // 0000000059FC: 8E3D813D
	s_and_b32 s60, 0xfffeffff, s60                             // 000000005A00: 863C3CFF FFFEFFFF
	s_and_b32 s61, 0xfffeffff, s61                             // 000000005A08: 863D3DFF FFFEFFFF
	v_cndmask_b32_e64 v63, v63, v178, s[60:61]                 // 000000005A10: D100003F 00F3653F
	s_branch label_068C                                        // 000000005A18: BF820005

0000000000005a1c <label_0687>:
	v_mov_b32_e32 v60, v178                                    // 000000005A1C: 7E7803B2
	v_mov_b32_e32 v61, v178                                    // 000000005A20: 7E7A03B2
	v_mov_b32_e32 v62, v178                                    // 000000005A24: 7E7C03B2
	v_mov_b32_e32 v63, v178                                    // 000000005A28: 7E7E03B2
	s_branch label_068C                                        // 000000005A2C: BF820000

0000000000005a30 <label_068C>:
	s_addk_i32 s74, 0x1                                        // 000000005A30: B74A0001
	s_add_u32 s62, 0, s47                                      // 000000005A34: 803E2F80
	s_cmp_lt_i32 s74, s62                                      // 000000005A38: BF043E4A
	s_cbranch_scc1 label_06B8                                  // 000000005A3C: BF850028
	s_cmp_eq_i32 s74, s62                                      // 000000005A40: BF003E4A
	s_cbranch_scc1 label_069D                                  // 000000005A44: BF85000B
	s_add_u32 s62, 4, s47                                      // 000000005A48: 803E2F84
	s_cmp_lt_i32 s74, s62                                      // 000000005A4C: BF043E4A
	s_cbranch_scc1 label_06D8                                  // 000000005A50: BF850043
	s_cmp_eq_i32 s74, s62                                      // 000000005A54: BF003E4A
	s_cbranch_scc1 label_06BD                                  // 000000005A58: BF850026
	s_add_u32 s62, 8, s47                                      // 000000005A5C: 803E2F88
	s_cmp_lt_i32 s74, s62                                      // 000000005A60: BF043E4A
	s_cbranch_scc1 label_06F8                                  // 000000005A64: BF85005E
	s_cmp_eq_i32 s74, s62                                      // 000000005A68: BF003E4A
	s_cbranch_scc1 label_06DD                                  // 000000005A6C: BF850041
	s_branch label_06FD                                        // 000000005A70: BF820060

0000000000005a74 <label_069D>:
	v_cndmask_b32_e64 v64, v64, v178, s[60:61]                 // 000000005A74: D1000040 00F36540
	s_lshl_b32 s60, s60, 1                                     // 000000005A7C: 8E3C813C
	s_lshl_b32 s61, s61, 1                                     // 000000005A80: 8E3D813D
	s_and_b32 s60, 0xfffeffff, s60                             // 000000005A84: 863C3CFF FFFEFFFF
	s_and_b32 s61, 0xfffeffff, s61                             // 000000005A8C: 863D3DFF FFFEFFFF
	v_cndmask_b32_e64 v65, v65, v178, s[60:61]                 // 000000005A94: D1000041 00F36541
	s_lshl_b32 s60, s60, 1                                     // 000000005A9C: 8E3C813C
	s_lshl_b32 s61, s61, 1                                     // 000000005AA0: 8E3D813D
	s_and_b32 s60, 0xfffeffff, s60                             // 000000005AA4: 863C3CFF FFFEFFFF
	s_and_b32 s61, 0xfffeffff, s61                             // 000000005AAC: 863D3DFF FFFEFFFF
	v_cndmask_b32_e64 v66, v66, v178, s[60:61]                 // 000000005AB4: D1000042 00F36542
	s_lshl_b32 s60, s60, 1                                     // 000000005ABC: 8E3C813C
	s_lshl_b32 s61, s61, 1                                     // 000000005AC0: 8E3D813D
	s_and_b32 s60, 0xfffeffff, s60                             // 000000005AC4: 863C3CFF FFFEFFFF
	s_and_b32 s61, 0xfffeffff, s61                             // 000000005ACC: 863D3DFF FFFEFFFF
	v_cndmask_b32_e64 v67, v67, v178, s[60:61]                 // 000000005AD4: D1000043 00F36543
	s_branch label_06D8                                        // 000000005ADC: BF820020

0000000000005ae0 <label_06B8>:
	v_mov_b32_e32 v64, v178                                    // 000000005AE0: 7E8003B2
	v_mov_b32_e32 v65, v178                                    // 000000005AE4: 7E8203B2
	v_mov_b32_e32 v66, v178                                    // 000000005AE8: 7E8403B2
	v_mov_b32_e32 v67, v178                                    // 000000005AEC: 7E8603B2
	s_branch label_06D8                                        // 000000005AF0: BF82001B

0000000000005af4 <label_06BD>:
	v_cndmask_b32_e64 v68, v68, v178, s[60:61]                 // 000000005AF4: D1000044 00F36544
	s_lshl_b32 s60, s60, 1                                     // 000000005AFC: 8E3C813C
	s_lshl_b32 s61, s61, 1                                     // 000000005B00: 8E3D813D
	s_and_b32 s60, 0xfffeffff, s60                             // 000000005B04: 863C3CFF FFFEFFFF
	s_and_b32 s61, 0xfffeffff, s61                             // 000000005B0C: 863D3DFF FFFEFFFF
	v_cndmask_b32_e64 v69, v69, v178, s[60:61]                 // 000000005B14: D1000045 00F36545
	s_lshl_b32 s60, s60, 1                                     // 000000005B1C: 8E3C813C
	s_lshl_b32 s61, s61, 1                                     // 000000005B20: 8E3D813D
	s_and_b32 s60, 0xfffeffff, s60                             // 000000005B24: 863C3CFF FFFEFFFF
	s_and_b32 s61, 0xfffeffff, s61                             // 000000005B2C: 863D3DFF FFFEFFFF
	v_cndmask_b32_e64 v70, v70, v178, s[60:61]                 // 000000005B34: D1000046 00F36546
	s_lshl_b32 s60, s60, 1                                     // 000000005B3C: 8E3C813C
	s_lshl_b32 s61, s61, 1                                     // 000000005B40: 8E3D813D
	s_and_b32 s60, 0xfffeffff, s60                             // 000000005B44: 863C3CFF FFFEFFFF
	s_and_b32 s61, 0xfffeffff, s61                             // 000000005B4C: 863D3DFF FFFEFFFF
	v_cndmask_b32_e64 v71, v71, v178, s[60:61]                 // 000000005B54: D1000047 00F36547
	s_branch label_06F8                                        // 000000005B5C: BF820020

0000000000005b60 <label_06D8>:
	v_mov_b32_e32 v68, v178                                    // 000000005B60: 7E8803B2
	v_mov_b32_e32 v69, v178                                    // 000000005B64: 7E8A03B2
	v_mov_b32_e32 v70, v178                                    // 000000005B68: 7E8C03B2
	v_mov_b32_e32 v71, v178                                    // 000000005B6C: 7E8E03B2
	s_branch label_06F8                                        // 000000005B70: BF82001B

0000000000005b74 <label_06DD>:
	v_cndmask_b32_e64 v72, v72, v178, s[60:61]                 // 000000005B74: D1000048 00F36548
	s_lshl_b32 s60, s60, 1                                     // 000000005B7C: 8E3C813C
	s_lshl_b32 s61, s61, 1                                     // 000000005B80: 8E3D813D
	s_and_b32 s60, 0xfffeffff, s60                             // 000000005B84: 863C3CFF FFFEFFFF
	s_and_b32 s61, 0xfffeffff, s61                             // 000000005B8C: 863D3DFF FFFEFFFF
	v_cndmask_b32_e64 v73, v73, v178, s[60:61]                 // 000000005B94: D1000049 00F36549
	s_lshl_b32 s60, s60, 1                                     // 000000005B9C: 8E3C813C
	s_lshl_b32 s61, s61, 1                                     // 000000005BA0: 8E3D813D
	s_and_b32 s60, 0xfffeffff, s60                             // 000000005BA4: 863C3CFF FFFEFFFF
	s_and_b32 s61, 0xfffeffff, s61                             // 000000005BAC: 863D3DFF FFFEFFFF
	v_cndmask_b32_e64 v74, v74, v178, s[60:61]                 // 000000005BB4: D100004A 00F3654A
	s_lshl_b32 s60, s60, 1                                     // 000000005BBC: 8E3C813C
	s_lshl_b32 s61, s61, 1                                     // 000000005BC0: 8E3D813D
	s_and_b32 s60, 0xfffeffff, s60                             // 000000005BC4: 863C3CFF FFFEFFFF
	s_and_b32 s61, 0xfffeffff, s61                             // 000000005BCC: 863D3DFF FFFEFFFF
	v_cndmask_b32_e64 v75, v75, v178, s[60:61]                 // 000000005BD4: D100004B 00F3654B
	s_branch label_06FD                                        // 000000005BDC: BF820005

0000000000005be0 <label_06F8>:
	v_mov_b32_e32 v72, v178                                    // 000000005BE0: 7E9003B2
	v_mov_b32_e32 v73, v178                                    // 000000005BE4: 7E9203B2
	v_mov_b32_e32 v74, v178                                    // 000000005BE8: 7E9403B2
	v_mov_b32_e32 v75, v178                                    // 000000005BEC: 7E9603B2
	s_branch label_06FD                                        // 000000005BF0: BF820000

0000000000005bf4 <label_06FD>:
	s_addk_i32 s74, 0x1                                        // 000000005BF4: B74A0001
	s_waitcnt lgkmcnt(8)                                       // 000000005BF8: BF8CC87F
	s_barrier                                                  // 000000005BFC: BF8A0000
	v_mfma_f32_16x16x16_f16 v[76:79], v[108:109], a[72:73], 0  // 000000005C00: D3CD004C 1202916C
	ds_read_b128 a[96:99], v14 offset:4352                     // 000000005C08: DBFE1100 6000000E
	ds_read_b128 a[100:103], v14 offset:4864                   // 000000005C10: DBFE1300 6400000E
	v_mfma_f32_16x16x16_f16 v[76:79], v[110:111], a[74:75], v[76:79]// 000000005C18: D3CD004C 1532956E
	v_fma_f32 v52, v52, s57, -v140                             // 000000005C20: D1CB0034 86307334
	v_fma_f32 v53, v53, s57, -v141                             // 000000005C28: D1CB0035 86347335
	v_fma_f32 v54, v54, s57, -v142                             // 000000005C30: D1CB0036 86387336
	v_fma_f32 v55, v55, s57, -v143                             // 000000005C38: D1CB0037 863C7337
	v_fma_f32 v56, v56, s57, -v140                             // 000000005C40: D1CB0038 86307338
	v_fma_f32 v57, v57, s57, -v141                             // 000000005C48: D1CB0039 86347339
	v_mfma_f32_16x16x16_f16 v[76:79], v[112:113], a[76:77], v[76:79]// 000000005C50: D3CD004C 15329970
	v_fma_f32 v58, v58, s57, -v142                             // 000000005C58: D1CB003A 8638733A
	v_fma_f32 v59, v59, s57, -v143                             // 000000005C60: D1CB003B 863C733B
	v_fma_f32 v60, v60, s57, -v140                             // 000000005C68: D1CB003C 8630733C
	v_fma_f32 v61, v61, s57, -v141                             // 000000005C70: D1CB003D 8634733D
	v_fma_f32 v62, v62, s57, -v142                             // 000000005C78: D1CB003E 8638733E
	v_fma_f32 v63, v63, s57, -v143                             // 000000005C80: D1CB003F 863C733F
	v_mfma_f32_16x16x16_f16 v[76:79], v[114:115], a[78:79], v[76:79]// 000000005C88: D3CD004C 15329D72
	v_fma_f32 v64, v64, s57, -v144                             // 000000005C90: D1CB0040 86407340
	v_fma_f32 v65, v65, s57, -v145                             // 000000005C98: D1CB0041 86447341
	v_fma_f32 v66, v66, s57, -v146                             // 000000005CA0: D1CB0042 86487342
	v_fma_f32 v67, v67, s57, -v147                             // 000000005CA8: D1CB0043 864C7343
	v_fma_f32 v68, v68, s57, -v144                             // 000000005CB0: D1CB0044 86407344
	v_fma_f32 v69, v69, s57, -v145                             // 000000005CB8: D1CB0045 86447345
	v_mfma_f32_16x16x16_f16 v[80:83], v[108:109], a[80:81], 0  // 000000005CC0: D3CD0050 1202A16C
	ds_read_b128 a[104:107], v14 offset:6528                   // 000000005CC8: DBFE1980 6800000E
	ds_read_b128 a[108:111], v14 offset:7040                   // 000000005CD0: DBFE1B80 6C00000E
	v_mfma_f32_16x16x16_f16 v[80:83], v[110:111], a[82:83], v[80:83]// 000000005CD8: D3CD0050 1542A56E
	v_fma_f32 v70, v70, s57, -v146                             // 000000005CE0: D1CB0046 86487346
	v_fma_f32 v71, v71, s57, -v147                             // 000000005CE8: D1CB0047 864C7347
	v_fma_f32 v72, v72, s57, -v144                             // 000000005CF0: D1CB0048 86407348
	v_fma_f32 v73, v73, s57, -v145                             // 000000005CF8: D1CB0049 86447349
	v_fma_f32 v74, v74, s57, -v146                             // 000000005D00: D1CB004A 8648734A
	v_fma_f32 v75, v75, s57, -v147                             // 000000005D08: D1CB004B 864C734B
	v_mfma_f32_16x16x16_f16 v[80:83], v[112:113], a[84:85], v[80:83]// 000000005D10: D3CD0050 1542A970
	v_exp_f32_e32 v52, v52                                     // 000000005D18: 7E684134
	v_exp_f32_e32 v53, v53                                     // 000000005D1C: 7E6A4135
	v_mfma_f32_16x16x16_f16 v[80:83], v[114:115], a[86:87], v[80:83]// 000000005D20: D3CD0050 1542AD72
	v_exp_f32_e32 v54, v54                                     // 000000005D28: 7E6C4136
	v_exp_f32_e32 v55, v55                                     // 000000005D2C: 7E6E4137
	v_mfma_f32_16x16x16_f16 v[84:87], v[108:109], a[88:89], 0  // 000000005D30: D3CD0054 1202B16C
	ds_read_b32 v156, v21 offset:31232                         // 000000005D38: D86C7A00 9C000015
	ds_read_b32 v157, v21 offset:31248                         // 000000005D40: D86C7A10 9D000015
	v_mfma_f32_16x16x16_f16 v[84:87], v[110:111], a[90:91], v[84:87]// 000000005D48: D3CD0054 1552B56E
	v_exp_f32_e32 v56, v56                                     // 000000005D50: 7E704138
	v_exp_f32_e32 v57, v57                                     // 000000005D54: 7E724139
	v_mfma_f32_16x16x16_f16 v[84:87], v[112:113], a[92:93], v[84:87]// 000000005D58: D3CD0054 1552B970
	ds_read_b32 v158, v21 offset:31264                         // 000000005D60: D86C7A20 9E000015
	ds_read_b32 v159, v21 offset:31280                         // 000000005D68: D86C7A30 9F000015
	v_mfma_f32_16x16x16_f16 v[84:87], v[114:115], a[94:95], v[84:87]// 000000005D70: D3CD0054 1552BD72
	v_exp_f32_e32 v58, v58                                     // 000000005D78: 7E74413A
	v_exp_f32_e32 v59, v59                                     // 000000005D7C: 7E76413B
	v_mfma_f32_16x16x16_f16 v[88:91], v[116:117], a[72:73], 0  // 000000005D80: D3CD0058 12029174
	v_exp_f32_e32 v60, v60                                     // 000000005D88: 7E78413C
	v_exp_f32_e32 v61, v61                                     // 000000005D8C: 7E7A413D
	v_mfma_f32_16x16x16_f16 v[88:91], v[118:119], a[74:75], v[88:91]// 000000005D90: D3CD0058 15629576
	v_exp_f32_e32 v62, v62                                     // 000000005D98: 7E7C413E
	v_exp_f32_e32 v63, v63                                     // 000000005D9C: 7E7E413F
	v_mfma_f32_16x16x16_f16 v[88:91], v[120:121], a[76:77], v[88:91]// 000000005DA0: D3CD0058 15629978
	v_exp_f32_e32 v64, v64                                     // 000000005DA8: 7E804140
	v_exp_f32_e32 v65, v65                                     // 000000005DAC: 7E824141
	v_mfma_f32_16x16x16_f16 v[88:91], v[122:123], a[78:79], v[88:91]// 000000005DB0: D3CD0058 15629D7A
	v_exp_f32_e32 v66, v66                                     // 000000005DB8: 7E844142
	v_exp_f32_e32 v67, v67                                     // 000000005DBC: 7E864143
	v_mfma_f32_16x16x16_f16 v[92:95], v[116:117], a[80:81], 0  // 000000005DC0: D3CD005C 1202A174
	v_exp_f32_e32 v68, v68                                     // 000000005DC8: 7E884144
	v_exp_f32_e32 v69, v69                                     // 000000005DCC: 7E8A4145
	v_mfma_f32_16x16x16_f16 v[92:95], v[118:119], a[82:83], v[92:95]// 000000005DD0: D3CD005C 1572A576
	v_exp_f32_e32 v70, v70                                     // 000000005DD8: 7E8C4146
	v_exp_f32_e32 v71, v71                                     // 000000005DDC: 7E8E4147
	v_mfma_f32_16x16x16_f16 v[92:95], v[120:121], a[84:85], v[92:95]// 000000005DE0: D3CD005C 1572A978
	v_exp_f32_e32 v72, v72                                     // 000000005DE8: 7E904148
	v_exp_f32_e32 v73, v73                                     // 000000005DEC: 7E924149
	v_mfma_f32_16x16x16_f16 v[92:95], v[122:123], a[86:87], v[92:95]// 000000005DF0: D3CD005C 1572AD7A
	v_exp_f32_e32 v74, v74                                     // 000000005DF8: 7E94414A
	v_exp_f32_e32 v75, v75                                     // 000000005DFC: 7E96414B
	v_mfma_f32_16x16x16_f16 v[96:99], v[116:117], a[88:89], 0  // 000000005E00: D3CD0060 1202B174
	v_cvt_pkrtz_f16_f32 v164, v52, v53                         // 000000005E08: D29600A4 00026B34
	v_cvt_pkrtz_f16_f32 v165, v54, v55                         // 000000005E10: D29600A5 00026F36
	v_cvt_pkrtz_f16_f32 v166, v56, v57                         // 000000005E18: D29600A6 00027338
	v_cvt_pkrtz_f16_f32 v167, v58, v59                         // 000000005E20: D29600A7 0002773A
	v_cvt_pkrtz_f16_f32 v168, v60, v61                         // 000000005E28: D29600A8 00027B3C
	v_cvt_pkrtz_f16_f32 v169, v62, v63                         // 000000005E30: D29600A9 00027F3E
	v_mfma_f32_16x16x16_f16 v[96:99], v[118:119], a[90:91], v[96:99]// 000000005E38: D3CD0060 1582B576
	v_cvt_pkrtz_f16_f32 v170, v64, v65                         // 000000005E40: D29600AA 00028340
	v_cvt_pkrtz_f16_f32 v171, v66, v67                         // 000000005E48: D29600AB 00028742
	v_cvt_pkrtz_f16_f32 v172, v68, v69                         // 000000005E50: D29600AC 00028B44
	v_cvt_pkrtz_f16_f32 v173, v70, v71                         // 000000005E58: D29600AD 00028F46
	v_cvt_pkrtz_f16_f32 v174, v72, v73                         // 000000005E60: D29600AE 00029348
	v_cvt_pkrtz_f16_f32 v175, v74, v75                         // 000000005E68: D29600AF 0002974A
	v_mfma_f32_16x16x16_f16 v[96:99], v[120:121], a[92:93], v[96:99]// 000000005E70: D3CD0060 1582B978
	s_add_u32 s32, s66, s32                                    // 000000005E78: 80202042
	s_addc_u32 s33, 0, s33                                     // 000000005E7C: 82212180
	v_mfma_f32_16x16x16_f16 v[96:99], v[122:123], a[94:95], v[96:99]// 000000005E80: D3CD0060 1582BD7A
	s_waitcnt lgkmcnt(0)                                       // 000000005E88: BF8CC07F
	s_barrier                                                  // 000000005E8C: BF8A0000
	v_mfma_f32_16x16x16_f16 v[180:183], v[124:125], v[164:165], v[180:183]// 000000005E90: D3CD00B4 06D3497C
	v_subrev_f32_dpp v76, v176, v76 quad_perm:[0,0,0,0] row_mask:0xf bank_mask:0xf// 000000005E98: 069898FA FF0000B0
	v_subrev_f32_dpp v77, v176, v77 quad_perm:[1,1,1,1] row_mask:0xf bank_mask:0xf// 000000005EA0: 069A9AFA FF0055B0
	v_subrev_f32_dpp v78, v176, v78 quad_perm:[2,2,2,2] row_mask:0xf bank_mask:0xf// 000000005EA8: 069C9CFA FF00AAB0
	v_subrev_f32_dpp v79, v176, v79 quad_perm:[3,3,3,3] row_mask:0xf bank_mask:0xf// 000000005EB0: 069E9EFA FF00FFB0
	v_subrev_f32_dpp v80, v176, v80 quad_perm:[0,0,0,0] row_mask:0xf bank_mask:0xf// 000000005EB8: 06A0A0FA FF0000B0
	v_subrev_f32_dpp v81, v176, v81 quad_perm:[1,1,1,1] row_mask:0xf bank_mask:0xf// 000000005EC0: 06A2A2FA FF0055B0
	v_mfma_f32_16x16x16_f16 v[184:187], v[126:127], v[164:165], v[184:187]// 000000005EC8: D3CD00B8 06E3497E
	v_subrev_f32_dpp v82, v176, v82 quad_perm:[2,2,2,2] row_mask:0xf bank_mask:0xf// 000000005ED0: 06A4A4FA FF00AAB0
	v_subrev_f32_dpp v83, v176, v83 quad_perm:[3,3,3,3] row_mask:0xf bank_mask:0xf// 000000005ED8: 06A6A6FA FF00FFB0
	v_subrev_f32_dpp v84, v176, v84 quad_perm:[0,0,0,0] row_mask:0xf bank_mask:0xf// 000000005EE0: 06A8A8FA FF0000B0
	v_subrev_f32_dpp v85, v176, v85 quad_perm:[1,1,1,1] row_mask:0xf bank_mask:0xf// 000000005EE8: 06AAAAFA FF0055B0
	v_subrev_f32_dpp v86, v176, v86 quad_perm:[2,2,2,2] row_mask:0xf bank_mask:0xf// 000000005EF0: 06ACACFA FF00AAB0
	v_subrev_f32_dpp v87, v176, v87 quad_perm:[3,3,3,3] row_mask:0xf bank_mask:0xf// 000000005EF8: 06AEAEFA FF00FFB0
	v_mfma_f32_16x16x16_f16 v[188:191], v[128:129], v[164:165], v[188:191]// 000000005F00: D3CD00BC 06F34980
	v_mul_f32_e32 v76, v52, v76                                // 000000005F08: 0A989934
	v_mul_f32_e32 v77, v53, v77                                // 000000005F0C: 0A9A9B35
	v_mul_f32_e32 v78, v54, v78                                // 000000005F10: 0A9C9D36
	v_mul_f32_e32 v79, v55, v79                                // 000000005F14: 0A9E9F37
	v_mul_f32_e32 v80, v56, v80                                // 000000005F18: 0AA0A138
	v_mul_f32_e32 v81, v57, v81                                // 000000005F1C: 0AA2A339
	v_mfma_f32_16x16x16_f16 v[192:195], v[130:131], v[164:165], v[192:195]// 000000005F20: D3CD00C0 07034982
	v_mul_f32_e32 v82, v58, v82                                // 000000005F28: 0AA4A53A
	v_mul_f32_e32 v83, v59, v83                                // 000000005F2C: 0AA6A73B
	v_mul_f32_e32 v84, v60, v84                                // 000000005F30: 0AA8A93C
	v_mul_f32_e32 v85, v61, v85                                // 000000005F34: 0AAAAB3D
	v_mul_f32_e32 v86, v62, v86                                // 000000005F38: 0AACAD3E
	v_mul_f32_e32 v87, v63, v87                                // 000000005F3C: 0AAEAF3F
	v_mfma_f32_16x16x16_f16 v[196:199], v[124:125], v[166:167], v[196:199]// 000000005F40: D3CD00C4 07134D7C
	v_cvt_pkrtz_f16_f32 v76, v76, v77                          // 000000005F48: D296004C 00029B4C
	v_cvt_pkrtz_f16_f32 v77, v78, v79                          // 000000005F50: D296004D 00029F4E
	v_cvt_pkrtz_f16_f32 v78, v80, v81                          // 000000005F58: D296004E 0002A350
	v_cvt_pkrtz_f16_f32 v79, v82, v83                          // 000000005F60: D296004F 0002A752
	v_cvt_pkrtz_f16_f32 v80, v84, v85                          // 000000005F68: D2960050 0002AB54
	v_cvt_pkrtz_f16_f32 v81, v86, v87                          // 000000005F70: D2960051 0002AF56
	v_mfma_f32_16x16x16_f16 v[200:203], v[126:127], v[166:167], v[200:203]// 000000005F78: D3CD00C8 07234D7E
	v_mov_b32_dpp v18, v76 quad_perm:[1,0,3,2] row_mask:0xf bank_mask:0xf// 000000005F80: 7E2402FA FF00B14C
	v_perm_b32 v52, v18, v76, v17                              // 000000005F88: D1ED0034 04469912
	v_mov_b32_dpp v18, v77 quad_perm:[1,0,3,2] row_mask:0xf bank_mask:0xf// 000000005F90: 7E2402FA FF00B14D
	v_perm_b32 v53, v18, v77, v17                              // 000000005F98: D1ED0035 04469B12
	v_mov_b32_dpp v18, v78 quad_perm:[1,0,3,2] row_mask:0xf bank_mask:0xf// 000000005FA0: 7E2402FA FF00B14E
	v_perm_b32 v54, v18, v78, v17                              // 000000005FA8: D1ED0036 04469D12
	v_mfma_f32_16x16x16_f16 v[204:207], v[128:129], v[166:167], v[204:207]// 000000005FB0: D3CD00CC 07334D80
	v_mov_b32_dpp v18, v79 quad_perm:[1,0,3,2] row_mask:0xf bank_mask:0xf// 000000005FB8: 7E2402FA FF00B14F
	v_perm_b32 v55, v18, v79, v17                              // 000000005FC0: D1ED0037 04469F12
	v_mov_b32_dpp v18, v80 quad_perm:[1,0,3,2] row_mask:0xf bank_mask:0xf// 000000005FC8: 7E2402FA FF00B150
	v_perm_b32 v56, v18, v80, v17                              // 000000005FD0: D1ED0038 0446A112
	v_mov_b32_dpp v18, v81 quad_perm:[1,0,3,2] row_mask:0xf bank_mask:0xf// 000000005FD8: 7E2402FA FF00B151
	v_perm_b32 v57, v18, v81, v17                              // 000000005FE0: D1ED0039 0446A312
	v_mfma_f32_16x16x16_f16 v[208:211], v[130:131], v[166:167], v[208:211]// 000000005FE8: D3CD00D0 07434D82
	ds_write_b32 v20, v52 offset:17408                         // 000000005FF0: D81A4400 00003414
	ds_write_b32 v20, v53 offset:17952                         // 000000005FF8: D81A4620 00003514
	v_mfma_f32_16x16x16_f16 v[212:215], v[124:125], v[168:169], v[212:215]// 000000006000: D3CD00D4 0753517C
	v_subrev_f32_dpp v88, v177, v88 quad_perm:[0,0,0,0] row_mask:0xf bank_mask:0xf// 000000006008: 06B0B0FA FF0000B1
	v_subrev_f32_dpp v89, v177, v89 quad_perm:[1,1,1,1] row_mask:0xf bank_mask:0xf// 000000006010: 06B2B2FA FF0055B1
	v_subrev_f32_dpp v90, v177, v90 quad_perm:[2,2,2,2] row_mask:0xf bank_mask:0xf// 000000006018: 06B4B4FA FF00AAB1
	v_subrev_f32_dpp v91, v177, v91 quad_perm:[3,3,3,3] row_mask:0xf bank_mask:0xf// 000000006020: 06B6B6FA FF00FFB1
	v_subrev_f32_dpp v92, v177, v92 quad_perm:[0,0,0,0] row_mask:0xf bank_mask:0xf// 000000006028: 06B8B8FA FF0000B1
	v_subrev_f32_dpp v93, v177, v93 quad_perm:[1,1,1,1] row_mask:0xf bank_mask:0xf// 000000006030: 06BABAFA FF0055B1
	v_mfma_f32_16x16x16_f16 v[216:219], v[126:127], v[168:169], v[216:219]// 000000006038: D3CD00D8 0763517E
	ds_write_b32 v20, v54 offset:19712                         // 000000006040: D81A4D00 00003614
	ds_write_b32 v20, v55 offset:20256                         // 000000006048: D81A4F20 00003714
	v_mfma_f32_16x16x16_f16 v[220:223], v[128:129], v[168:169], v[220:223]// 000000006050: D3CD00DC 07735180
	v_subrev_f32_dpp v94, v177, v94 quad_perm:[2,2,2,2] row_mask:0xf bank_mask:0xf// 000000006058: 06BCBCFA FF00AAB1
	v_subrev_f32_dpp v95, v177, v95 quad_perm:[3,3,3,3] row_mask:0xf bank_mask:0xf// 000000006060: 06BEBEFA FF00FFB1
	v_subrev_f32_dpp v96, v177, v96 quad_perm:[0,0,0,0] row_mask:0xf bank_mask:0xf// 000000006068: 06C0C0FA FF0000B1
	v_subrev_f32_dpp v97, v177, v97 quad_perm:[1,1,1,1] row_mask:0xf bank_mask:0xf// 000000006070: 06C2C2FA FF0055B1
	v_subrev_f32_dpp v98, v177, v98 quad_perm:[2,2,2,2] row_mask:0xf bank_mask:0xf// 000000006078: 06C4C4FA FF00AAB1
	v_subrev_f32_dpp v99, v177, v99 quad_perm:[3,3,3,3] row_mask:0xf bank_mask:0xf// 000000006080: 06C6C6FA FF00FFB1
	v_mfma_f32_16x16x16_f16 v[224:227], v[130:131], v[168:169], v[224:227]// 000000006088: D3CD00E0 07835182
	ds_write_b32 v20, v56 offset:22016                         // 000000006090: D81A5600 00003814
	ds_write_b32 v20, v57 offset:22560                         // 000000006098: D81A5820 00003914
	v_mfma_f32_16x16x16_f16 v[180:183], v[132:133], v[170:171], v[180:183]// 0000000060A0: D3CD00B4 06D35584
	v_mul_f32_e32 v88, v64, v88                                // 0000000060A8: 0AB0B140
	v_mul_f32_e32 v89, v65, v89                                // 0000000060AC: 0AB2B341
	v_mul_f32_e32 v90, v66, v90                                // 0000000060B0: 0AB4B542
	v_mul_f32_e32 v91, v67, v91                                // 0000000060B4: 0AB6B743
	v_mul_f32_e32 v92, v68, v92                                // 0000000060B8: 0AB8B944
	v_mul_f32_e32 v93, v69, v93                                // 0000000060BC: 0ABABB45
	v_mfma_f32_16x16x16_f16 v[184:187], v[134:135], v[170:171], v[184:187]// 0000000060C0: D3CD00B8 06E35586
	v_mul_f32_e32 v94, v70, v94                                // 0000000060C8: 0ABCBD46
	v_mul_f32_e32 v95, v71, v95                                // 0000000060CC: 0ABEBF47
	v_mul_f32_e32 v96, v72, v96                                // 0000000060D0: 0AC0C148
	v_mul_f32_e32 v97, v73, v97                                // 0000000060D4: 0AC2C349
	v_mul_f32_e32 v98, v74, v98                                // 0000000060D8: 0AC4C54A
	v_mul_f32_e32 v99, v75, v99                                // 0000000060DC: 0AC6C74B
	v_mfma_f32_16x16x16_f16 v[188:191], v[136:137], v[170:171], v[188:191]// 0000000060E0: D3CD00BC 06F35588
	v_cvt_pkrtz_f16_f32 v82, v88, v89                          // 0000000060E8: D2960052 0002B358
	v_cvt_pkrtz_f16_f32 v83, v90, v91                          // 0000000060F0: D2960053 0002B75A
	v_cvt_pkrtz_f16_f32 v84, v92, v93                          // 0000000060F8: D2960054 0002BB5C
	v_cvt_pkrtz_f16_f32 v85, v94, v95                          // 000000006100: D2960055 0002BF5E
	v_cvt_pkrtz_f16_f32 v86, v96, v97                          // 000000006108: D2960056 0002C360
	v_cvt_pkrtz_f16_f32 v87, v98, v99                          // 000000006110: D2960057 0002C762
	v_mfma_f32_16x16x16_f16 v[192:195], v[138:139], v[170:171], v[192:195]// 000000006118: D3CD00C0 0703558A
	v_mov_b32_dpp v18, v82 quad_perm:[1,0,3,2] row_mask:0xf bank_mask:0xf// 000000006120: 7E2402FA FF00B152
	v_perm_b32 v58, v18, v82, v17                              // 000000006128: D1ED003A 0446A512
	v_mov_b32_dpp v18, v83 quad_perm:[1,0,3,2] row_mask:0xf bank_mask:0xf// 000000006130: 7E2402FA FF00B153
	v_perm_b32 v59, v18, v83, v17                              // 000000006138: D1ED003B 0446A712
	v_mov_b32_dpp v18, v84 quad_perm:[1,0,3,2] row_mask:0xf bank_mask:0xf// 000000006140: 7E2402FA FF00B154
	v_perm_b32 v60, v18, v84, v17                              // 000000006148: D1ED003C 0446A912
	v_mfma_f32_16x16x16_f16 v[196:199], v[132:133], v[172:173], v[196:199]// 000000006150: D3CD00C4 07135984
	v_mov_b32_dpp v18, v85 quad_perm:[1,0,3,2] row_mask:0xf bank_mask:0xf// 000000006158: 7E2402FA FF00B155
	v_perm_b32 v61, v18, v85, v17                              // 000000006160: D1ED003D 0446AB12
	v_mov_b32_dpp v18, v86 quad_perm:[1,0,3,2] row_mask:0xf bank_mask:0xf// 000000006168: 7E2402FA FF00B156
	v_perm_b32 v62, v18, v86, v17                              // 000000006170: D1ED003E 0446AD12
	v_mov_b32_dpp v18, v87 quad_perm:[1,0,3,2] row_mask:0xf bank_mask:0xf// 000000006178: 7E2402FA FF00B157
	v_perm_b32 v63, v18, v87, v17                              // 000000006180: D1ED003F 0446AF12
	v_mfma_f32_16x16x16_f16 v[200:203], v[134:135], v[172:173], v[200:203]// 000000006188: D3CD00C8 07235986
	ds_write_b32 v20, v58 offset:24320                         // 000000006190: D81A5F00 00003A14
	ds_write_b32 v20, v59 offset:24864                         // 000000006198: D81A6120 00003B14
	v_mfma_f32_16x16x16_f16 v[204:207], v[136:137], v[172:173], v[204:207]// 0000000061A0: D3CD00CC 07335988
	v_mfma_f32_16x16x16_f16 v[208:211], v[138:139], v[172:173], v[208:211]// 0000000061A8: D3CD00D0 0743598A
	ds_write_b32 v20, v60 offset:26624                         // 0000000061B0: D81A6800 00003C14
	ds_write_b32 v20, v61 offset:27168                         // 0000000061B8: D81A6A20 00003D14
	ds_write_b32 v20, v62 offset:28928                         // 0000000061C0: D81A7100 00003E14
	ds_write_b32 v20, v63 offset:29472                         // 0000000061C8: D81A7320 00003F14
	v_mfma_f32_16x16x16_f16 v[212:215], v[132:133], v[174:175], v[212:215]// 0000000061D0: D3CD00D4 07535D84
	v_mfma_f32_16x16x16_f16 v[216:219], v[134:135], v[174:175], v[216:219]// 0000000061D8: D3CD00D8 07635D86
	ds_write_b32 v15, v100 offset:4352                         // 0000000061E0: D81A1100 0000640F
	ds_write_b32 v15, v101 offset:5408                         // 0000000061E8: D81A1520 0000650F
	v_mfma_f32_16x16x16_f16 v[220:223], v[136:137], v[174:175], v[220:223]// 0000000061F0: D3CD00DC 07735D88
	s_nop 0                                                    // 0000000061F8: BF800000
	s_nop 0                                                    // 0000000061FC: BF800000
	s_nop 0                                                    // 000000006200: BF800000
	v_mfma_f32_16x16x16_f16 v[224:227], v[138:139], v[174:175], v[224:227]// 000000006204: D3CD00E0 07835D8A
	ds_write_b32 v15, v102 offset:6528                         // 00000000620C: D81A1980 0000660F
	ds_write_b32 v15, v103 offset:7584                         // 000000006214: D81A1DA0 0000670F
	s_barrier                                                  // 00000000621C: BF8A0000
	v_mfma_f32_16x16x16_f16 a[112:115], a[96:97], v[76:77], a[112:115]// 000000006220: D3CD8070 0DC29960
	buffer_atomic_pk_add_f16 v156, v7, s[32:35], 0 idxen       // 000000006228: E1382000 80089C07
	v_mfma_f32_16x16x16_f16 a[116:119], a[98:99], v[76:77], a[116:119]// 000000006230: D3CD8074 0DD29962
	ds_read_b32 v140, v23 offset:36096                         // 000000006238: D86C8D00 8C000017
	ds_read_b32 v144, v23 offset:36160                         // 000000006240: D86C8D40 90000017
	ds_read_b32 v176, v23 offset:36352                         // 000000006248: D86C8E00 B0000017
	ds_read_b32 v177, v23 offset:36416                         // 000000006250: D86C8E40 B1000017
	v_mfma_f32_16x16x16_f16 a[120:123], a[100:101], v[76:77], a[120:123]// 000000006258: D3CD8078 0DE29964
	s_waitcnt lgkmcnt(8)                                       // 000000006260: BF8CC87F
	s_barrier                                                  // 000000006264: BF8A0000
	v_mfma_f32_16x16x16_f16 a[124:127], a[102:103], v[76:77], a[124:127]// 000000006268: D3CD807C 0DF29966
	ds_read_b128 v[52:55], v19 offset:17408                    // 000000006270: D9FE4400 34000013
	v_mfma_f32_16x16x16_f16 a[128:131], a[96:97], v[78:79], a[128:131]// 000000006278: D3CD8080 0E029D60
	v_mfma_f32_16x16x16_f16 a[132:135], a[98:99], v[78:79], a[132:135]// 000000006280: D3CD8084 0E129D62
	ds_read_b128 v[56:59], v19 offset:18560                    // 000000006288: D9FE4880 38000013
	v_mfma_f32_16x16x16_f16 a[136:139], a[100:101], v[78:79], a[136:139]// 000000006290: D3CD8088 0E229D64
	buffer_atomic_pk_add_f16 v157, v8, s[32:35], 0 idxen       // 000000006298: E1382000 80089D08
	v_mfma_f32_16x16x16_f16 a[140:143], a[102:103], v[78:79], a[140:143]// 0000000062A0: D3CD808C 0E329D66
	ds_read_b128 v[60:63], v19 offset:19712                    // 0000000062A8: D9FE4D00 3C000013
	v_mfma_f32_16x16x16_f16 a[144:147], a[96:97], v[80:81], a[144:147]// 0000000062B0: D3CD8090 0E42A160
	v_mfma_f32_16x16x16_f16 a[148:151], a[98:99], v[80:81], a[148:151]// 0000000062B8: D3CD8094 0E52A162
	ds_read_b128 v[64:67], v19 offset:20864                    // 0000000062C0: D9FE5180 40000013
	v_mfma_f32_16x16x16_f16 a[152:155], a[100:101], v[80:81], a[152:155]// 0000000062C8: D3CD8098 0E62A164
	v_mfma_f32_16x16x16_f16 a[156:159], a[102:103], v[80:81], a[156:159]// 0000000062D0: D3CD809C 0E72A166
	ds_read_b128 v[68:71], v19 offset:22016                    // 0000000062D8: D9FE5600 44000013
	v_mfma_f32_16x16x16_f16 a[112:115], a[104:105], v[82:83], a[112:115]// 0000000062E0: D3CD8070 0DC2A568
	buffer_atomic_pk_add_f16 v158, v9, s[32:35], 0 idxen       // 0000000062E8: E1382000 80089E09
	v_mfma_f32_16x16x16_f16 a[116:119], a[106:107], v[82:83], a[116:119]// 0000000062F0: D3CD8074 0DD2A56A
	ds_read_b128 v[72:75], v19 offset:23168                    // 0000000062F8: D9FE5A80 48000013
	v_mfma_f32_16x16x16_f16 a[120:123], a[108:109], v[82:83], a[120:123]// 000000006300: D3CD8078 0DE2A56C
	v_mfma_f32_16x16x16_f16 a[124:127], a[110:111], v[82:83], a[124:127]// 000000006308: D3CD807C 0DF2A56E
	ds_write_b32 v15, v104 offset:13056                        // 000000006310: D81A3300 0000680F
	v_mfma_f32_16x16x16_f16 a[128:131], a[104:105], v[84:85], a[128:131]// 000000006318: D3CD8080 0E02A968
	v_mfma_f32_16x16x16_f16 a[132:135], a[106:107], v[84:85], a[132:135]// 000000006320: D3CD8084 0E12A96A
	ds_write_b32 v15, v105 offset:14112                        // 000000006328: D81A3720 0000690F
	v_mfma_f32_16x16x16_f16 a[136:139], a[108:109], v[84:85], a[136:139]// 000000006330: D3CD8088 0E22A96C
	buffer_atomic_pk_add_f16 v159, v10, s[32:35], 0 idxen      // 000000006338: E1382000 80089F0A
	v_mfma_f32_16x16x16_f16 a[140:143], a[110:111], v[84:85], a[140:143]// 000000006340: D3CD808C 0E32A96E
	ds_write_b32 v15, v106 offset:15232                        // 000000006348: D81A3B80 00006A0F
	v_mfma_f32_16x16x16_f16 a[144:147], a[104:105], v[86:87], a[144:147]// 000000006350: D3CD8090 0E42AD68
	v_mfma_f32_16x16x16_f16 a[148:151], a[106:107], v[86:87], a[148:151]// 000000006358: D3CD8094 0E52AD6A
	ds_write_b32 v15, v107 offset:16288                        // 000000006360: D81A3FA0 00006B0F
	v_mfma_f32_16x16x16_f16 a[152:155], a[108:109], v[86:87], a[152:155]// 000000006368: D3CD8098 0E62AD6C
	v_mfma_f32_16x16x16_f16 a[156:159], a[110:111], v[86:87], a[156:159]// 000000006370: D3CD809C 0E72AD6E
	s_waitcnt vmcnt(4) lgkmcnt(4)                              // 000000006378: BF8C0474
	s_barrier                                                  // 00000000637C: BF8A0000
	v_mfma_f32_16x16x16_f16 v[148:151], a[24:25], v[52:53], 0  // 000000006380: D3CD0094 0A026918
	v_mul_f32_e32 v140, s49, v140                              // 000000006388: 0B191831
	v_mul_f32_e32 v144, s49, v144                              // 00000000638C: 0B212031
	s_nop 0                                                    // 000000006390: BF800000
	v_mfma_f32_16x16x16_f16 v[148:151], a[28:29], v[54:55], v[148:151]// 000000006394: D3CD0094 0E526D1C
	ds_read_b128 a[96:99], v12                                 // 00000000639C: DBFE0000 6000000C
	buffer_load_dword v40, v1, s[8:11], 0 idxen                // 0000000063A4: E0502000 80022801
	v_mfma_f32_16x16x16_f16 v[148:151], a[32:33], v[56:57], v[148:151]// 0000000063AC: D3CD0094 0E527120
	v_mfma_f32_16x16x16_f16 v[148:151], a[36:37], v[58:59], v[148:151]// 0000000063B4: D3CD0094 0E527524
	ds_read_b128 a[100:103], v12 offset:512                    // 0000000063BC: DBFE0200 6400000C
	buffer_load_dword v41, v2, s[8:11], 0 idxen                // 0000000063C4: E0502000 80022902
	v_mfma_f32_16x16x16_f16 v[148:151], a[40:41], v[60:61], v[148:151]// 0000000063CC: D3CD0094 0E527928
	v_perm_b32 v100, v37, v36, s63                             // 0000000063D4: D1ED0064 00FE4925
	v_perm_b32 v101, v37, v36, s64                             // 0000000063DC: D1ED0065 01024925
	v_mfma_f32_16x16x16_f16 v[148:151], a[44:45], v[62:63], v[148:151]// 0000000063E4: D3CD0094 0E527D2C
	ds_read_b128 a[104:107], v12 offset:2176                   // 0000000063EC: DBFE0880 6800000C
	buffer_load_dword v42, v3, s[8:11], 0 idxen                // 0000000063F4: E0502000 80022A03
	v_mfma_f32_16x16x16_f16 v[148:151], a[48:49], v[64:65], v[148:151]// 0000000063FC: D3CD0094 0E528130
	v_perm_b32 v102, v39, v38, s63                             // 000000006404: D1ED0066 00FE4D27
	v_perm_b32 v103, v39, v38, s64                             // 00000000640C: D1ED0067 01024D27
	v_mfma_f32_16x16x16_f16 v[148:151], a[52:53], v[66:67], v[148:151]// 000000006414: D3CD0094 0E528534
	ds_read_b128 a[108:111], v12 offset:2688                   // 00000000641C: DBFE0A80 6C00000C
	buffer_load_dword v43, v4, s[8:11], 0 idxen                // 000000006424: E0502000 80022B04
	v_mfma_f32_16x16x16_f16 v[148:151], a[56:57], v[68:69], v[148:151]// 00000000642C: D3CD0094 0E528938
	v_perm_b32 v104, v45, v44, s63                             // 000000006434: D1ED0068 00FE592D
	v_perm_b32 v105, v45, v44, s64                             // 00000000643C: D1ED0069 0102592D
	v_mfma_f32_16x16x16_f16 v[148:151], a[60:61], v[70:71], v[148:151]// 000000006444: D3CD0094 0E528D3C
	ds_read_b128 v[108:111], v12 offset:8704                   // 00000000644C: D9FE2200 6C00000C
	buffer_load_dword v48, v1, s[20:23], 0 idxen               // 000000006454: E0502000 80053001
	v_mfma_f32_16x16x16_f16 v[148:151], a[64:65], v[72:73], v[148:151]// 00000000645C: D3CD0094 0E529140
	v_perm_b32 v106, v47, v46, s63                             // 000000006464: D1ED006A 00FE5D2F
	v_perm_b32 v107, v47, v46, s64                             // 00000000646C: D1ED006B 01025D2F
	v_mfma_f32_16x16x16_f16 v[148:151], a[68:69], v[74:75], v[148:151]// 000000006474: D3CD0094 0E529544
	ds_read_b128 v[112:115], v12 offset:9216                   // 00000000647C: D9FE2400 7000000C
	buffer_load_dword v49, v2, s[20:23], 0 idxen               // 000000006484: E0502000 80053102
	v_mfma_f32_16x16x16_f16 v[152:155], a[26:27], v[52:53], 0  // 00000000648C: D3CD0098 0A02691A
	v_mov_b32_dpp v143, v140 quad_perm:[3,3,3,3] row_mask:0xf bank_mask:0xf// 000000006494: 7F1E02FA FF00FF8C
	v_mov_b32_dpp v142, v140 quad_perm:[2,2,2,2] row_mask:0xf bank_mask:0xf// 00000000649C: 7F1C02FA FF00AA8C
	v_mov_b32_dpp v141, v140 quad_perm:[1,1,1,1] row_mask:0xf bank_mask:0xf// 0000000064A4: 7F1A02FA FF00558C
	v_mov_b32_dpp v140, v140 quad_perm:[0,0,0,0] row_mask:0xf bank_mask:0xf// 0000000064AC: 7F1802FA FF00008C
	v_mfma_f32_16x16x16_f16 v[152:155], a[30:31], v[54:55], v[152:155]// 0000000064B4: D3CD0098 0E626D1E
	ds_read_b128 v[116:119], v12 offset:10880                  // 0000000064BC: D9FE2A80 7400000C
	buffer_load_dword v50, v3, s[20:23], 0 idxen               // 0000000064C4: E0502000 80053203
	v_mfma_f32_16x16x16_f16 v[152:155], a[34:35], v[56:57], v[152:155]// 0000000064CC: D3CD0098 0E627122
	v_mov_b32_dpp v147, v144 quad_perm:[3,3,3,3] row_mask:0xf bank_mask:0xf// 0000000064D4: 7F2602FA FF00FF90
	v_mov_b32_dpp v146, v144 quad_perm:[2,2,2,2] row_mask:0xf bank_mask:0xf// 0000000064DC: 7F2402FA FF00AA90
	v_mov_b32_dpp v145, v144 quad_perm:[1,1,1,1] row_mask:0xf bank_mask:0xf// 0000000064E4: 7F2202FA FF005590
	v_mov_b32_dpp v144, v144 quad_perm:[0,0,0,0] row_mask:0xf bank_mask:0xf// 0000000064EC: 7F2002FA FF000090
	s_add_u32 s60, 0x80, s59                                   // 0000000064F4: 803C3BFF 00000080
	v_mfma_f32_16x16x16_f16 v[152:155], a[38:39], v[58:59], v[152:155]// 0000000064FC: D3CD0098 0E627526
	ds_read_b128 v[120:123], v12 offset:11392                  // 000000006504: D9FE2C80 7800000C
	buffer_load_dword v51, v4, s[20:23], 0 idxen               // 00000000650C: E0502000 80053304
	v_mfma_f32_16x16x16_f16 v[152:155], a[42:43], v[60:61], v[152:155]// 000000006514: D3CD0098 0E62792A
	s_cmp_lt_u32 s60, s58                                      // 00000000651C: BF0A3A3C
	s_cselect_b32 s68, s68, 0                                  // 000000006520: 85448044
	s_cselect_b32 s69, s69, 0                                  // 000000006524: 85458045
	v_mfma_f32_16x16x16_f16 v[152:155], a[46:47], v[62:63], v[152:155]// 000000006528: D3CD0098 0E627D2E
	buffer_load_dword v11, s[24:27], 0 idxen lds               // 000000006530: E0512000 8006000B
	v_mfma_f32_16x16x16_f16 v[152:155], a[50:51], v[64:65], v[152:155]// 000000006538: D3CD0098 0E628132
	s_add_u32 s8, s68, s8                                      // 000000006540: 80080844
	s_addc_u32 s9, 0, s9                                       // 000000006544: 82090980
	v_mfma_f32_16x16x16_f16 v[152:155], a[54:55], v[66:67], v[152:155]// 000000006548: D3CD0098 0E628536
	s_add_u32 s20, s68, s20                                    // 000000006550: 80141444
	s_addc_u32 s21, 0, s21                                     // 000000006554: 82151580
	v_mfma_f32_16x16x16_f16 v[152:155], a[58:59], v[68:69], v[152:155]// 000000006558: D3CD0098 0E62893A
	s_mov_b32 m0, s78                                          // 000000006560: BEFC004E
	v_add_u32_e32 v11, s69, v11                                // 000000006564: 68161645
	v_mfma_f32_16x16x16_f16 v[152:155], a[62:63], v[70:71], v[152:155]// 000000006568: D3CD0098 0E628D3E
	s_cmp_ge_u32 s59, s73                                      // 000000006570: BF09493B
	s_cselect_b32 s66, s67, s66                                // 000000006574: 85424243
	v_mfma_f32_16x16x16_f16 v[152:155], a[66:67], v[72:73], v[152:155]// 000000006578: D3CD0098 0E629142
	s_addk_i32 s59, 0x20                                       // 000000006580: B73B0020
	s_nop 0                                                    // 000000006584: BF800000
	s_cmp_lt_i32 s59, s58                                      // 000000006588: BF043A3B
	v_mfma_f32_16x16x16_f16 v[152:155], a[70:71], v[74:75], v[152:155]// 00000000658C: D3CD0098 0E629546
	s_cbranch_scc0 label_0D16                                  // 000000006594: BF8403B0
	s_waitcnt lgkmcnt(4)                                       // 000000006598: BF8CC47F
	s_barrier                                                  // 00000000659C: BF8A0000
	v_mfma_f32_16x16x16_f16 v[52:55], a[96:97], a[0:1], 0      // 0000000065A0: D3CD0034 1A020160
	ds_write_b32 v13, v44 offset:8704                          // 0000000065A8: D81A2200 00002C0D
	ds_write_b32 v13, v45 offset:9760                          // 0000000065B0: D81A2620 00002D0D
	v_mfma_f32_16x16x16_f16 v[52:55], a[98:99], a[2:3], v[52:55]// 0000000065B8: D3CD0034 1CD20562
	v_mul_f32_e32 v148, s48, v148                              // 0000000065C0: 0B292830
	v_mul_f32_e32 v149, s48, v149                              // 0000000065C4: 0B2B2A30
	v_mfma_f32_16x16x16_f16 v[52:55], a[100:101], a[4:5], v[52:55]// 0000000065C8: D3CD0034 1CD20964
	ds_write_b32 v13, v46 offset:10880                         // 0000000065D0: D81A2A80 00002E0D
	ds_write_b32 v13, v47 offset:11936                         // 0000000065D8: D81A2EA0 00002F0D
	v_mfma_f32_16x16x16_f16 v[52:55], a[102:103], a[6:7], v[52:55]// 0000000065E0: D3CD0034 1CD20D66
	v_mul_f32_e32 v150, s48, v150                              // 0000000065E8: 0B2D2C30
	v_mul_f32_e32 v151, s48, v151                              // 0000000065EC: 0B2F2E30
	v_mfma_f32_16x16x16_f16 v[56:59], a[96:97], a[8:9], 0      // 0000000065F0: D3CD0038 1A021160
	v_mul_f32_e32 v152, s48, v152                              // 0000000065F8: 0B313030
	v_mul_f32_e32 v153, s48, v153                              // 0000000065FC: 0B333230
	v_mfma_f32_16x16x16_f16 v[56:59], a[98:99], a[10:11], v[56:59]// 000000006600: D3CD0038 1CE21562
	v_mul_f32_e32 v154, s48, v154                              // 000000006608: 0B353430
	v_mul_f32_e32 v155, s48, v155                              // 00000000660C: 0B373630
	v_mfma_f32_16x16x16_f16 v[56:59], a[100:101], a[12:13], v[56:59]// 000000006610: D3CD0038 1CE21964
	v_cvt_pkrtz_f16_f32 v148, v148, v149                       // 000000006618: D2960094 00032B94
	v_cvt_pkrtz_f16_f32 v149, v150, v151                       // 000000006620: D2960095 00032F96
	v_mfma_f32_16x16x16_f16 v[56:59], a[102:103], a[14:15], v[56:59]// 000000006628: D3CD0038 1CE21D66
	v_cvt_pkrtz_f16_f32 v150, v152, v153                       // 000000006630: D2960096 00033398
	v_cvt_pkrtz_f16_f32 v151, v154, v155                       // 000000006638: D2960097 0003379A
	v_mfma_f32_16x16x16_f16 v[60:63], a[96:97], a[16:17], 0    // 000000006640: D3CD003C 1A022160
	ds_write_b64 v22, v[148:149] offset:31232                  // 000000006648: D89A7A00 00009416
	v_mfma_f32_16x16x16_f16 v[60:63], a[98:99], a[18:19], v[60:63]// 000000006650: D3CD003C 1CF22562
	v_mfma_f32_16x16x16_f16 v[60:63], a[100:101], a[20:21], v[60:63]// 000000006658: D3CD003C 1CF22964
	ds_write_b64 v22, v[150:151] offset:31776                  // 000000006660: D89A7C20 00009616
	v_mfma_f32_16x16x16_f16 v[60:63], a[102:103], a[22:23], v[60:63]// 000000006668: D3CD003C 1CF22D66
	v_mfma_f32_16x16x16_f16 v[64:67], a[104:105], a[0:1], 0    // 000000006670: D3CD0040 1A020168
	ds_read_b128 v[124:127], v14 offset:13056                  // 000000006678: D9FE3300 7C00000E
	ds_write_b32 v13, v36                                      // 000000006680: D81A0000 0000240D
	v_mfma_f32_16x16x16_f16 v[64:67], a[106:107], a[2:3], v[64:67]// 000000006688: D3CD0040 1D02056A
	v_mfma_f32_16x16x16_f16 v[64:67], a[108:109], a[4:5], v[64:67]// 000000006690: D3CD0040 1D02096C
	v_mfma_f32_16x16x16_f16 v[64:67], a[110:111], a[6:7], v[64:67]// 000000006698: D3CD0040 1D020D6E
	ds_read_b128 v[128:131], v14 offset:13568                  // 0000000066A0: D9FE3500 8000000E
	ds_write_b32 v13, v37 offset:1056                          // 0000000066A8: D81A0420 0000250D
	v_mfma_f32_16x16x16_f16 v[68:71], a[104:105], a[8:9], 0    // 0000000066B0: D3CD0044 1A021168
	v_mfma_f32_16x16x16_f16 v[68:71], a[106:107], a[10:11], v[68:71]// 0000000066B8: D3CD0044 1D12156A
	v_mfma_f32_16x16x16_f16 v[68:71], a[108:109], a[12:13], v[68:71]// 0000000066C0: D3CD0044 1D12196C
	ds_read_b128 v[132:135], v14 offset:15232                  // 0000000066C8: D9FE3B80 8400000E
	ds_write_b32 v13, v38 offset:2176                          // 0000000066D0: D81A0880 0000260D
	v_mfma_f32_16x16x16_f16 v[68:71], a[110:111], a[14:15], v[68:71]// 0000000066D8: D3CD0044 1D121D6E
	v_mfma_f32_16x16x16_f16 v[72:75], a[104:105], a[16:17], 0  // 0000000066E0: D3CD0048 1A022168
	v_mfma_f32_16x16x16_f16 v[72:75], a[106:107], a[18:19], v[72:75]// 0000000066E8: D3CD0048 1D22256A
	ds_read_b128 v[136:139], v14 offset:15744                  // 0000000066F0: D9FE3D80 8800000E
	ds_write_b32 v13, v39 offset:3232                          // 0000000066F8: D81A0CA0 0000270D
	v_mfma_f32_16x16x16_f16 v[72:75], a[108:109], a[20:21], v[72:75]// 000000006700: D3CD0048 1D22296C
	v_mfma_f32_16x16x16_f16 v[72:75], a[110:111], a[22:23], v[72:75]// 000000006708: D3CD0048 1D222D6E
	s_cmp_lt_i32 s74, 12                                       // 000000006710: BF048C4A
	s_cbranch_scc0 label_0AAC                                  // 000000006714: BF8400E6
	s_mov_b32 s60, 0xffe0fffe                                  // 000000006718: BEBC00FF FFE0FFFE
	s_mov_b32 s61, 0xe000fe00                                  // 000000006720: BEBD00FF E000FE00
	s_nop 0                                                    // 000000006728: BF800000
	s_add_u32 s62, 0, s47                                      // 00000000672C: 803E2F80
	s_cmp_lt_i32 s74, s62                                      // 000000006730: BF043E4A
	s_cbranch_scc1 label_09F6                                  // 000000006734: BF850028
	s_cmp_eq_i32 s74, s62                                      // 000000006738: BF003E4A
	s_cbranch_scc1 label_09DB                                  // 00000000673C: BF85000B
	s_add_u32 s62, 4, s47                                      // 000000006740: 803E2F84
	s_cmp_lt_i32 s74, s62                                      // 000000006744: BF043E4A
	s_cbranch_scc1 label_0A16                                  // 000000006748: BF850043
	s_cmp_eq_i32 s74, s62                                      // 00000000674C: BF003E4A
	s_cbranch_scc1 label_09FB                                  // 000000006750: BF850026
	s_add_u32 s62, 8, s47                                      // 000000006754: 803E2F88
	s_cmp_lt_i32 s74, s62                                      // 000000006758: BF043E4A
	s_cbranch_scc1 label_0A36                                  // 00000000675C: BF85005E
	s_cmp_eq_i32 s74, s62                                      // 000000006760: BF003E4A
	s_cbranch_scc1 label_0A1B                                  // 000000006764: BF850041
	s_branch label_0A3B                                        // 000000006768: BF820060

000000000000676c <label_09DB>:
	v_cndmask_b32_e64 v52, v52, v178, s[60:61]                 // 00000000676C: D1000034 00F36534
	s_lshl_b32 s60, s60, 1                                     // 000000006774: 8E3C813C
	s_lshl_b32 s61, s61, 1                                     // 000000006778: 8E3D813D
	s_and_b32 s60, 0xfffeffff, s60                             // 00000000677C: 863C3CFF FFFEFFFF
	s_and_b32 s61, 0xfffeffff, s61                             // 000000006784: 863D3DFF FFFEFFFF
	v_cndmask_b32_e64 v53, v53, v178, s[60:61]                 // 00000000678C: D1000035 00F36535
	s_lshl_b32 s60, s60, 1                                     // 000000006794: 8E3C813C
	s_lshl_b32 s61, s61, 1                                     // 000000006798: 8E3D813D
	s_and_b32 s60, 0xfffeffff, s60                             // 00000000679C: 863C3CFF FFFEFFFF
	s_and_b32 s61, 0xfffeffff, s61                             // 0000000067A4: 863D3DFF FFFEFFFF
	v_cndmask_b32_e64 v54, v54, v178, s[60:61]                 // 0000000067AC: D1000036 00F36536
	s_lshl_b32 s60, s60, 1                                     // 0000000067B4: 8E3C813C
	s_lshl_b32 s61, s61, 1                                     // 0000000067B8: 8E3D813D
	s_and_b32 s60, 0xfffeffff, s60                             // 0000000067BC: 863C3CFF FFFEFFFF
	s_and_b32 s61, 0xfffeffff, s61                             // 0000000067C4: 863D3DFF FFFEFFFF
	v_cndmask_b32_e64 v55, v55, v178, s[60:61]                 // 0000000067CC: D1000037 00F36537
	s_branch label_0A16                                        // 0000000067D4: BF820020

00000000000067d8 <label_09F6>:
	v_mov_b32_e32 v52, v178                                    // 0000000067D8: 7E6803B2
	v_mov_b32_e32 v53, v178                                    // 0000000067DC: 7E6A03B2
	v_mov_b32_e32 v54, v178                                    // 0000000067E0: 7E6C03B2
	v_mov_b32_e32 v55, v178                                    // 0000000067E4: 7E6E03B2
	s_branch label_0A16                                        // 0000000067E8: BF82001B

00000000000067ec <label_09FB>:
	v_cndmask_b32_e64 v56, v56, v178, s[60:61]                 // 0000000067EC: D1000038 00F36538
	s_lshl_b32 s60, s60, 1                                     // 0000000067F4: 8E3C813C
	s_lshl_b32 s61, s61, 1                                     // 0000000067F8: 8E3D813D
	s_and_b32 s60, 0xfffeffff, s60                             // 0000000067FC: 863C3CFF FFFEFFFF
	s_and_b32 s61, 0xfffeffff, s61                             // 000000006804: 863D3DFF FFFEFFFF
	v_cndmask_b32_e64 v57, v57, v178, s[60:61]                 // 00000000680C: D1000039 00F36539
	s_lshl_b32 s60, s60, 1                                     // 000000006814: 8E3C813C
	s_lshl_b32 s61, s61, 1                                     // 000000006818: 8E3D813D
	s_and_b32 s60, 0xfffeffff, s60                             // 00000000681C: 863C3CFF FFFEFFFF
	s_and_b32 s61, 0xfffeffff, s61                             // 000000006824: 863D3DFF FFFEFFFF
	v_cndmask_b32_e64 v58, v58, v178, s[60:61]                 // 00000000682C: D100003A 00F3653A
	s_lshl_b32 s60, s60, 1                                     // 000000006834: 8E3C813C
	s_lshl_b32 s61, s61, 1                                     // 000000006838: 8E3D813D
	s_and_b32 s60, 0xfffeffff, s60                             // 00000000683C: 863C3CFF FFFEFFFF
	s_and_b32 s61, 0xfffeffff, s61                             // 000000006844: 863D3DFF FFFEFFFF
	v_cndmask_b32_e64 v59, v59, v178, s[60:61]                 // 00000000684C: D100003B 00F3653B
	s_branch label_0A36                                        // 000000006854: BF820020

0000000000006858 <label_0A16>:
	v_mov_b32_e32 v56, v178                                    // 000000006858: 7E7003B2
	v_mov_b32_e32 v57, v178                                    // 00000000685C: 7E7203B2
	v_mov_b32_e32 v58, v178                                    // 000000006860: 7E7403B2
	v_mov_b32_e32 v59, v178                                    // 000000006864: 7E7603B2
	s_branch label_0A36                                        // 000000006868: BF82001B

000000000000686c <label_0A1B>:
	v_cndmask_b32_e64 v60, v60, v178, s[60:61]                 // 00000000686C: D100003C 00F3653C
	s_lshl_b32 s60, s60, 1                                     // 000000006874: 8E3C813C
	s_lshl_b32 s61, s61, 1                                     // 000000006878: 8E3D813D
	s_and_b32 s60, 0xfffeffff, s60                             // 00000000687C: 863C3CFF FFFEFFFF
	s_and_b32 s61, 0xfffeffff, s61                             // 000000006884: 863D3DFF FFFEFFFF
	v_cndmask_b32_e64 v61, v61, v178, s[60:61]                 // 00000000688C: D100003D 00F3653D
	s_lshl_b32 s60, s60, 1                                     // 000000006894: 8E3C813C
	s_lshl_b32 s61, s61, 1                                     // 000000006898: 8E3D813D
	s_and_b32 s60, 0xfffeffff, s60                             // 00000000689C: 863C3CFF FFFEFFFF
	s_and_b32 s61, 0xfffeffff, s61                             // 0000000068A4: 863D3DFF FFFEFFFF
	v_cndmask_b32_e64 v62, v62, v178, s[60:61]                 // 0000000068AC: D100003E 00F3653E
	s_lshl_b32 s60, s60, 1                                     // 0000000068B4: 8E3C813C
	s_lshl_b32 s61, s61, 1                                     // 0000000068B8: 8E3D813D
	s_and_b32 s60, 0xfffeffff, s60                             // 0000000068BC: 863C3CFF FFFEFFFF
	s_and_b32 s61, 0xfffeffff, s61                             // 0000000068C4: 863D3DFF FFFEFFFF
	v_cndmask_b32_e64 v63, v63, v178, s[60:61]                 // 0000000068CC: D100003F 00F3653F
	s_branch label_0A3B                                        // 0000000068D4: BF820005

00000000000068d8 <label_0A36>:
	v_mov_b32_e32 v60, v178                                    // 0000000068D8: 7E7803B2
	v_mov_b32_e32 v61, v178                                    // 0000000068DC: 7E7A03B2
	v_mov_b32_e32 v62, v178                                    // 0000000068E0: 7E7C03B2
	v_mov_b32_e32 v63, v178                                    // 0000000068E4: 7E7E03B2
	s_branch label_0A3B                                        // 0000000068E8: BF820000

00000000000068ec <label_0A3B>:
	s_addk_i32 s74, 0x1                                        // 0000000068EC: B74A0001
	s_add_u32 s62, 0, s47                                      // 0000000068F0: 803E2F80
	s_cmp_lt_i32 s74, s62                                      // 0000000068F4: BF043E4A
	s_cbranch_scc1 label_0A67                                  // 0000000068F8: BF850028
	s_cmp_eq_i32 s74, s62                                      // 0000000068FC: BF003E4A
	s_cbranch_scc1 label_0A4C                                  // 000000006900: BF85000B
	s_add_u32 s62, 4, s47                                      // 000000006904: 803E2F84
	s_cmp_lt_i32 s74, s62                                      // 000000006908: BF043E4A
	s_cbranch_scc1 label_0A87                                  // 00000000690C: BF850043
	s_cmp_eq_i32 s74, s62                                      // 000000006910: BF003E4A
	s_cbranch_scc1 label_0A6C                                  // 000000006914: BF850026
	s_add_u32 s62, 8, s47                                      // 000000006918: 803E2F88
	s_cmp_lt_i32 s74, s62                                      // 00000000691C: BF043E4A
	s_cbranch_scc1 label_0AA7                                  // 000000006920: BF85005E
	s_cmp_eq_i32 s74, s62                                      // 000000006924: BF003E4A
	s_cbranch_scc1 label_0A8C                                  // 000000006928: BF850041
	s_branch label_0AAC                                        // 00000000692C: BF820060

0000000000006930 <label_0A4C>:
	v_cndmask_b32_e64 v64, v64, v178, s[60:61]                 // 000000006930: D1000040 00F36540
	s_lshl_b32 s60, s60, 1                                     // 000000006938: 8E3C813C
	s_lshl_b32 s61, s61, 1                                     // 00000000693C: 8E3D813D
	s_and_b32 s60, 0xfffeffff, s60                             // 000000006940: 863C3CFF FFFEFFFF
	s_and_b32 s61, 0xfffeffff, s61                             // 000000006948: 863D3DFF FFFEFFFF
	v_cndmask_b32_e64 v65, v65, v178, s[60:61]                 // 000000006950: D1000041 00F36541
	s_lshl_b32 s60, s60, 1                                     // 000000006958: 8E3C813C
	s_lshl_b32 s61, s61, 1                                     // 00000000695C: 8E3D813D
	s_and_b32 s60, 0xfffeffff, s60                             // 000000006960: 863C3CFF FFFEFFFF
	s_and_b32 s61, 0xfffeffff, s61                             // 000000006968: 863D3DFF FFFEFFFF
	v_cndmask_b32_e64 v66, v66, v178, s[60:61]                 // 000000006970: D1000042 00F36542
	s_lshl_b32 s60, s60, 1                                     // 000000006978: 8E3C813C
	s_lshl_b32 s61, s61, 1                                     // 00000000697C: 8E3D813D
	s_and_b32 s60, 0xfffeffff, s60                             // 000000006980: 863C3CFF FFFEFFFF
	s_and_b32 s61, 0xfffeffff, s61                             // 000000006988: 863D3DFF FFFEFFFF
	v_cndmask_b32_e64 v67, v67, v178, s[60:61]                 // 000000006990: D1000043 00F36543
	s_branch label_0A87                                        // 000000006998: BF820020

000000000000699c <label_0A67>:
	v_mov_b32_e32 v64, v178                                    // 00000000699C: 7E8003B2
	v_mov_b32_e32 v65, v178                                    // 0000000069A0: 7E8203B2
	v_mov_b32_e32 v66, v178                                    // 0000000069A4: 7E8403B2
	v_mov_b32_e32 v67, v178                                    // 0000000069A8: 7E8603B2
	s_branch label_0A87                                        // 0000000069AC: BF82001B

00000000000069b0 <label_0A6C>:
	v_cndmask_b32_e64 v68, v68, v178, s[60:61]                 // 0000000069B0: D1000044 00F36544
	s_lshl_b32 s60, s60, 1                                     // 0000000069B8: 8E3C813C
	s_lshl_b32 s61, s61, 1                                     // 0000000069BC: 8E3D813D
	s_and_b32 s60, 0xfffeffff, s60                             // 0000000069C0: 863C3CFF FFFEFFFF
	s_and_b32 s61, 0xfffeffff, s61                             // 0000000069C8: 863D3DFF FFFEFFFF
	v_cndmask_b32_e64 v69, v69, v178, s[60:61]                 // 0000000069D0: D1000045 00F36545
	s_lshl_b32 s60, s60, 1                                     // 0000000069D8: 8E3C813C
	s_lshl_b32 s61, s61, 1                                     // 0000000069DC: 8E3D813D
	s_and_b32 s60, 0xfffeffff, s60                             // 0000000069E0: 863C3CFF FFFEFFFF
	s_and_b32 s61, 0xfffeffff, s61                             // 0000000069E8: 863D3DFF FFFEFFFF
	v_cndmask_b32_e64 v70, v70, v178, s[60:61]                 // 0000000069F0: D1000046 00F36546
	s_lshl_b32 s60, s60, 1                                     // 0000000069F8: 8E3C813C
	s_lshl_b32 s61, s61, 1                                     // 0000000069FC: 8E3D813D
	s_and_b32 s60, 0xfffeffff, s60                             // 000000006A00: 863C3CFF FFFEFFFF
	s_and_b32 s61, 0xfffeffff, s61                             // 000000006A08: 863D3DFF FFFEFFFF
	v_cndmask_b32_e64 v71, v71, v178, s[60:61]                 // 000000006A10: D1000047 00F36547
	s_branch label_0AA7                                        // 000000006A18: BF820020

0000000000006a1c <label_0A87>:
	v_mov_b32_e32 v68, v178                                    // 000000006A1C: 7E8803B2
	v_mov_b32_e32 v69, v178                                    // 000000006A20: 7E8A03B2
	v_mov_b32_e32 v70, v178                                    // 000000006A24: 7E8C03B2
	v_mov_b32_e32 v71, v178                                    // 000000006A28: 7E8E03B2
	s_branch label_0AA7                                        // 000000006A2C: BF82001B

0000000000006a30 <label_0A8C>:
	v_cndmask_b32_e64 v72, v72, v178, s[60:61]                 // 000000006A30: D1000048 00F36548
	s_lshl_b32 s60, s60, 1                                     // 000000006A38: 8E3C813C
	s_lshl_b32 s61, s61, 1                                     // 000000006A3C: 8E3D813D
	s_and_b32 s60, 0xfffeffff, s60                             // 000000006A40: 863C3CFF FFFEFFFF
	s_and_b32 s61, 0xfffeffff, s61                             // 000000006A48: 863D3DFF FFFEFFFF
	v_cndmask_b32_e64 v73, v73, v178, s[60:61]                 // 000000006A50: D1000049 00F36549
	s_lshl_b32 s60, s60, 1                                     // 000000006A58: 8E3C813C
	s_lshl_b32 s61, s61, 1                                     // 000000006A5C: 8E3D813D
	s_and_b32 s60, 0xfffeffff, s60                             // 000000006A60: 863C3CFF FFFEFFFF
	s_and_b32 s61, 0xfffeffff, s61                             // 000000006A68: 863D3DFF FFFEFFFF
	v_cndmask_b32_e64 v74, v74, v178, s[60:61]                 // 000000006A70: D100004A 00F3654A
	s_lshl_b32 s60, s60, 1                                     // 000000006A78: 8E3C813C
	s_lshl_b32 s61, s61, 1                                     // 000000006A7C: 8E3D813D
	s_and_b32 s60, 0xfffeffff, s60                             // 000000006A80: 863C3CFF FFFEFFFF
	s_and_b32 s61, 0xfffeffff, s61                             // 000000006A88: 863D3DFF FFFEFFFF
	v_cndmask_b32_e64 v75, v75, v178, s[60:61]                 // 000000006A90: D100004B 00F3654B
	s_branch label_0AAC                                        // 000000006A98: BF820005

0000000000006a9c <label_0AA7>:
	v_mov_b32_e32 v72, v178                                    // 000000006A9C: 7E9003B2
	v_mov_b32_e32 v73, v178                                    // 000000006AA0: 7E9203B2
	v_mov_b32_e32 v74, v178                                    // 000000006AA4: 7E9403B2
	v_mov_b32_e32 v75, v178                                    // 000000006AA8: 7E9603B2
	s_branch label_0AAC                                        // 000000006AAC: BF820000

0000000000006ab0 <label_0AAC>:
	s_addk_i32 s74, 0x1                                        // 000000006AB0: B74A0001
	s_waitcnt lgkmcnt(8)                                       // 000000006AB4: BF8CC87F
	s_barrier                                                  // 000000006AB8: BF8A0000
	v_mfma_f32_16x16x16_f16 v[76:79], v[108:109], a[72:73], 0  // 000000006ABC: D3CD004C 1202916C
	ds_read_b128 a[96:99], v14 offset:4352                     // 000000006AC4: DBFE1100 6000000E
	ds_read_b128 a[100:103], v14 offset:4864                   // 000000006ACC: DBFE1300 6400000E
	v_mfma_f32_16x16x16_f16 v[76:79], v[110:111], a[74:75], v[76:79]// 000000006AD4: D3CD004C 1532956E
	v_fma_f32 v52, v52, s57, -v140                             // 000000006ADC: D1CB0034 86307334
	v_fma_f32 v53, v53, s57, -v141                             // 000000006AE4: D1CB0035 86347335
	v_fma_f32 v54, v54, s57, -v142                             // 000000006AEC: D1CB0036 86387336
	v_fma_f32 v55, v55, s57, -v143                             // 000000006AF4: D1CB0037 863C7337
	v_fma_f32 v56, v56, s57, -v140                             // 000000006AFC: D1CB0038 86307338
	v_fma_f32 v57, v57, s57, -v141                             // 000000006B04: D1CB0039 86347339
	v_mfma_f32_16x16x16_f16 v[76:79], v[112:113], a[76:77], v[76:79]// 000000006B0C: D3CD004C 15329970
	v_fma_f32 v58, v58, s57, -v142                             // 000000006B14: D1CB003A 8638733A
	v_fma_f32 v59, v59, s57, -v143                             // 000000006B1C: D1CB003B 863C733B
	v_fma_f32 v60, v60, s57, -v140                             // 000000006B24: D1CB003C 8630733C
	v_fma_f32 v61, v61, s57, -v141                             // 000000006B2C: D1CB003D 8634733D
	v_fma_f32 v62, v62, s57, -v142                             // 000000006B34: D1CB003E 8638733E
	v_fma_f32 v63, v63, s57, -v143                             // 000000006B3C: D1CB003F 863C733F
	v_mfma_f32_16x16x16_f16 v[76:79], v[114:115], a[78:79], v[76:79]// 000000006B44: D3CD004C 15329D72
	v_fma_f32 v64, v64, s57, -v144                             // 000000006B4C: D1CB0040 86407340
	v_fma_f32 v65, v65, s57, -v145                             // 000000006B54: D1CB0041 86447341
	v_fma_f32 v66, v66, s57, -v146                             // 000000006B5C: D1CB0042 86487342
	v_fma_f32 v67, v67, s57, -v147                             // 000000006B64: D1CB0043 864C7343
	v_fma_f32 v68, v68, s57, -v144                             // 000000006B6C: D1CB0044 86407344
	v_fma_f32 v69, v69, s57, -v145                             // 000000006B74: D1CB0045 86447345
	v_mfma_f32_16x16x16_f16 v[80:83], v[108:109], a[80:81], 0  // 000000006B7C: D3CD0050 1202A16C
	ds_read_b128 a[104:107], v14 offset:6528                   // 000000006B84: DBFE1980 6800000E
	ds_read_b128 a[108:111], v14 offset:7040                   // 000000006B8C: DBFE1B80 6C00000E
	v_mfma_f32_16x16x16_f16 v[80:83], v[110:111], a[82:83], v[80:83]// 000000006B94: D3CD0050 1542A56E
	v_fma_f32 v70, v70, s57, -v146                             // 000000006B9C: D1CB0046 86487346
	v_fma_f32 v71, v71, s57, -v147                             // 000000006BA4: D1CB0047 864C7347
	v_fma_f32 v72, v72, s57, -v144                             // 000000006BAC: D1CB0048 86407348
	v_fma_f32 v73, v73, s57, -v145                             // 000000006BB4: D1CB0049 86447349
	v_fma_f32 v74, v74, s57, -v146                             // 000000006BBC: D1CB004A 8648734A
	v_fma_f32 v75, v75, s57, -v147                             // 000000006BC4: D1CB004B 864C734B
	v_mfma_f32_16x16x16_f16 v[80:83], v[112:113], a[84:85], v[80:83]// 000000006BCC: D3CD0050 1542A970
	v_exp_f32_e32 v52, v52                                     // 000000006BD4: 7E684134
	v_exp_f32_e32 v53, v53                                     // 000000006BD8: 7E6A4135
	v_mfma_f32_16x16x16_f16 v[80:83], v[114:115], a[86:87], v[80:83]// 000000006BDC: D3CD0050 1542AD72
	v_exp_f32_e32 v54, v54                                     // 000000006BE4: 7E6C4136
	v_exp_f32_e32 v55, v55                                     // 000000006BE8: 7E6E4137
	v_mfma_f32_16x16x16_f16 v[84:87], v[108:109], a[88:89], 0  // 000000006BEC: D3CD0054 1202B16C
	ds_read_b32 v156, v21 offset:31232                         // 000000006BF4: D86C7A00 9C000015
	ds_read_b32 v157, v21 offset:31248                         // 000000006BFC: D86C7A10 9D000015
	v_mfma_f32_16x16x16_f16 v[84:87], v[110:111], a[90:91], v[84:87]// 000000006C04: D3CD0054 1552B56E
	v_exp_f32_e32 v56, v56                                     // 000000006C0C: 7E704138
	v_exp_f32_e32 v57, v57                                     // 000000006C10: 7E724139
	v_mfma_f32_16x16x16_f16 v[84:87], v[112:113], a[92:93], v[84:87]// 000000006C14: D3CD0054 1552B970
	ds_read_b32 v158, v21 offset:31264                         // 000000006C1C: D86C7A20 9E000015
	ds_read_b32 v159, v21 offset:31280                         // 000000006C24: D86C7A30 9F000015
	v_mfma_f32_16x16x16_f16 v[84:87], v[114:115], a[94:95], v[84:87]// 000000006C2C: D3CD0054 1552BD72
	v_exp_f32_e32 v58, v58                                     // 000000006C34: 7E74413A
	v_exp_f32_e32 v59, v59                                     // 000000006C38: 7E76413B
	v_mfma_f32_16x16x16_f16 v[88:91], v[116:117], a[72:73], 0  // 000000006C3C: D3CD0058 12029174
	v_exp_f32_e32 v60, v60                                     // 000000006C44: 7E78413C
	v_exp_f32_e32 v61, v61                                     // 000000006C48: 7E7A413D
	v_mfma_f32_16x16x16_f16 v[88:91], v[118:119], a[74:75], v[88:91]// 000000006C4C: D3CD0058 15629576
	v_exp_f32_e32 v62, v62                                     // 000000006C54: 7E7C413E
	v_exp_f32_e32 v63, v63                                     // 000000006C58: 7E7E413F
	v_mfma_f32_16x16x16_f16 v[88:91], v[120:121], a[76:77], v[88:91]// 000000006C5C: D3CD0058 15629978
	v_exp_f32_e32 v64, v64                                     // 000000006C64: 7E804140
	v_exp_f32_e32 v65, v65                                     // 000000006C68: 7E824141
	v_mfma_f32_16x16x16_f16 v[88:91], v[122:123], a[78:79], v[88:91]// 000000006C6C: D3CD0058 15629D7A
	v_exp_f32_e32 v66, v66                                     // 000000006C74: 7E844142
	v_exp_f32_e32 v67, v67                                     // 000000006C78: 7E864143
	v_mfma_f32_16x16x16_f16 v[92:95], v[116:117], a[80:81], 0  // 000000006C7C: D3CD005C 1202A174
	v_exp_f32_e32 v68, v68                                     // 000000006C84: 7E884144
	v_exp_f32_e32 v69, v69                                     // 000000006C88: 7E8A4145
	v_mfma_f32_16x16x16_f16 v[92:95], v[118:119], a[82:83], v[92:95]// 000000006C8C: D3CD005C 1572A576
	v_exp_f32_e32 v70, v70                                     // 000000006C94: 7E8C4146
	v_exp_f32_e32 v71, v71                                     // 000000006C98: 7E8E4147
	v_mfma_f32_16x16x16_f16 v[92:95], v[120:121], a[84:85], v[92:95]// 000000006C9C: D3CD005C 1572A978
	v_exp_f32_e32 v72, v72                                     // 000000006CA4: 7E904148
	v_exp_f32_e32 v73, v73                                     // 000000006CA8: 7E924149
	v_mfma_f32_16x16x16_f16 v[92:95], v[122:123], a[86:87], v[92:95]// 000000006CAC: D3CD005C 1572AD7A
	v_exp_f32_e32 v74, v74                                     // 000000006CB4: 7E94414A
	v_exp_f32_e32 v75, v75                                     // 000000006CB8: 7E96414B
	v_mfma_f32_16x16x16_f16 v[96:99], v[116:117], a[88:89], 0  // 000000006CBC: D3CD0060 1202B174
	v_cvt_pkrtz_f16_f32 v164, v52, v53                         // 000000006CC4: D29600A4 00026B34
	v_cvt_pkrtz_f16_f32 v165, v54, v55                         // 000000006CCC: D29600A5 00026F36
	v_cvt_pkrtz_f16_f32 v166, v56, v57                         // 000000006CD4: D29600A6 00027338
	v_cvt_pkrtz_f16_f32 v167, v58, v59                         // 000000006CDC: D29600A7 0002773A
	v_cvt_pkrtz_f16_f32 v168, v60, v61                         // 000000006CE4: D29600A8 00027B3C
	v_cvt_pkrtz_f16_f32 v169, v62, v63                         // 000000006CEC: D29600A9 00027F3E
	v_mfma_f32_16x16x16_f16 v[96:99], v[118:119], a[90:91], v[96:99]// 000000006CF4: D3CD0060 1582B576
	v_cvt_pkrtz_f16_f32 v170, v64, v65                         // 000000006CFC: D29600AA 00028340
	v_cvt_pkrtz_f16_f32 v171, v66, v67                         // 000000006D04: D29600AB 00028742
	v_cvt_pkrtz_f16_f32 v172, v68, v69                         // 000000006D0C: D29600AC 00028B44
	v_cvt_pkrtz_f16_f32 v173, v70, v71                         // 000000006D14: D29600AD 00028F46
	v_cvt_pkrtz_f16_f32 v174, v72, v73                         // 000000006D1C: D29600AE 00029348
	v_cvt_pkrtz_f16_f32 v175, v74, v75                         // 000000006D24: D29600AF 0002974A
	v_mfma_f32_16x16x16_f16 v[96:99], v[120:121], a[92:93], v[96:99]// 000000006D2C: D3CD0060 1582B978
	s_add_u32 s32, s66, s32                                    // 000000006D34: 80202042
	s_addc_u32 s33, 0, s33                                     // 000000006D38: 82212180
	v_mfma_f32_16x16x16_f16 v[96:99], v[122:123], a[94:95], v[96:99]// 000000006D3C: D3CD0060 1582BD7A
	s_waitcnt lgkmcnt(0)                                       // 000000006D44: BF8CC07F
	s_barrier                                                  // 000000006D48: BF8A0000
	v_mfma_f32_16x16x16_f16 v[180:183], v[124:125], v[164:165], v[180:183]// 000000006D4C: D3CD00B4 06D3497C
	v_subrev_f32_dpp v76, v176, v76 quad_perm:[0,0,0,0] row_mask:0xf bank_mask:0xf// 000000006D54: 069898FA FF0000B0
	v_subrev_f32_dpp v77, v176, v77 quad_perm:[1,1,1,1] row_mask:0xf bank_mask:0xf// 000000006D5C: 069A9AFA FF0055B0
	v_subrev_f32_dpp v78, v176, v78 quad_perm:[2,2,2,2] row_mask:0xf bank_mask:0xf// 000000006D64: 069C9CFA FF00AAB0
	v_subrev_f32_dpp v79, v176, v79 quad_perm:[3,3,3,3] row_mask:0xf bank_mask:0xf// 000000006D6C: 069E9EFA FF00FFB0
	v_subrev_f32_dpp v80, v176, v80 quad_perm:[0,0,0,0] row_mask:0xf bank_mask:0xf// 000000006D74: 06A0A0FA FF0000B0
	v_subrev_f32_dpp v81, v176, v81 quad_perm:[1,1,1,1] row_mask:0xf bank_mask:0xf// 000000006D7C: 06A2A2FA FF0055B0
	v_mfma_f32_16x16x16_f16 v[184:187], v[126:127], v[164:165], v[184:187]// 000000006D84: D3CD00B8 06E3497E
	v_subrev_f32_dpp v82, v176, v82 quad_perm:[2,2,2,2] row_mask:0xf bank_mask:0xf// 000000006D8C: 06A4A4FA FF00AAB0
	v_subrev_f32_dpp v83, v176, v83 quad_perm:[3,3,3,3] row_mask:0xf bank_mask:0xf// 000000006D94: 06A6A6FA FF00FFB0
	v_subrev_f32_dpp v84, v176, v84 quad_perm:[0,0,0,0] row_mask:0xf bank_mask:0xf// 000000006D9C: 06A8A8FA FF0000B0
	v_subrev_f32_dpp v85, v176, v85 quad_perm:[1,1,1,1] row_mask:0xf bank_mask:0xf// 000000006DA4: 06AAAAFA FF0055B0
	v_subrev_f32_dpp v86, v176, v86 quad_perm:[2,2,2,2] row_mask:0xf bank_mask:0xf// 000000006DAC: 06ACACFA FF00AAB0
	v_subrev_f32_dpp v87, v176, v87 quad_perm:[3,3,3,3] row_mask:0xf bank_mask:0xf// 000000006DB4: 06AEAEFA FF00FFB0
	v_mfma_f32_16x16x16_f16 v[188:191], v[128:129], v[164:165], v[188:191]// 000000006DBC: D3CD00BC 06F34980
	v_mul_f32_e32 v76, v52, v76                                // 000000006DC4: 0A989934
	v_mul_f32_e32 v77, v53, v77                                // 000000006DC8: 0A9A9B35
	v_mul_f32_e32 v78, v54, v78                                // 000000006DCC: 0A9C9D36
	v_mul_f32_e32 v79, v55, v79                                // 000000006DD0: 0A9E9F37
	v_mul_f32_e32 v80, v56, v80                                // 000000006DD4: 0AA0A138
	v_mul_f32_e32 v81, v57, v81                                // 000000006DD8: 0AA2A339
	v_mfma_f32_16x16x16_f16 v[192:195], v[130:131], v[164:165], v[192:195]// 000000006DDC: D3CD00C0 07034982
	v_mul_f32_e32 v82, v58, v82                                // 000000006DE4: 0AA4A53A
	v_mul_f32_e32 v83, v59, v83                                // 000000006DE8: 0AA6A73B
	v_mul_f32_e32 v84, v60, v84                                // 000000006DEC: 0AA8A93C
	v_mul_f32_e32 v85, v61, v85                                // 000000006DF0: 0AAAAB3D
	v_mul_f32_e32 v86, v62, v86                                // 000000006DF4: 0AACAD3E
	v_mul_f32_e32 v87, v63, v87                                // 000000006DF8: 0AAEAF3F
	v_mfma_f32_16x16x16_f16 v[196:199], v[124:125], v[166:167], v[196:199]// 000000006DFC: D3CD00C4 07134D7C
	v_cvt_pkrtz_f16_f32 v76, v76, v77                          // 000000006E04: D296004C 00029B4C
	v_cvt_pkrtz_f16_f32 v77, v78, v79                          // 000000006E0C: D296004D 00029F4E
	v_cvt_pkrtz_f16_f32 v78, v80, v81                          // 000000006E14: D296004E 0002A350
	v_cvt_pkrtz_f16_f32 v79, v82, v83                          // 000000006E1C: D296004F 0002A752
	v_cvt_pkrtz_f16_f32 v80, v84, v85                          // 000000006E24: D2960050 0002AB54
	v_cvt_pkrtz_f16_f32 v81, v86, v87                          // 000000006E2C: D2960051 0002AF56
	v_mfma_f32_16x16x16_f16 v[200:203], v[126:127], v[166:167], v[200:203]// 000000006E34: D3CD00C8 07234D7E
	v_mov_b32_dpp v18, v76 quad_perm:[1,0,3,2] row_mask:0xf bank_mask:0xf// 000000006E3C: 7E2402FA FF00B14C
	v_perm_b32 v52, v18, v76, v17                              // 000000006E44: D1ED0034 04469912
	v_mov_b32_dpp v18, v77 quad_perm:[1,0,3,2] row_mask:0xf bank_mask:0xf// 000000006E4C: 7E2402FA FF00B14D
	v_perm_b32 v53, v18, v77, v17                              // 000000006E54: D1ED0035 04469B12
	v_mov_b32_dpp v18, v78 quad_perm:[1,0,3,2] row_mask:0xf bank_mask:0xf// 000000006E5C: 7E2402FA FF00B14E
	v_perm_b32 v54, v18, v78, v17                              // 000000006E64: D1ED0036 04469D12
	v_mfma_f32_16x16x16_f16 v[204:207], v[128:129], v[166:167], v[204:207]// 000000006E6C: D3CD00CC 07334D80
	v_mov_b32_dpp v18, v79 quad_perm:[1,0,3,2] row_mask:0xf bank_mask:0xf// 000000006E74: 7E2402FA FF00B14F
	v_perm_b32 v55, v18, v79, v17                              // 000000006E7C: D1ED0037 04469F12
	v_mov_b32_dpp v18, v80 quad_perm:[1,0,3,2] row_mask:0xf bank_mask:0xf// 000000006E84: 7E2402FA FF00B150
	v_perm_b32 v56, v18, v80, v17                              // 000000006E8C: D1ED0038 0446A112
	v_mov_b32_dpp v18, v81 quad_perm:[1,0,3,2] row_mask:0xf bank_mask:0xf// 000000006E94: 7E2402FA FF00B151
	v_perm_b32 v57, v18, v81, v17                              // 000000006E9C: D1ED0039 0446A312
	v_mfma_f32_16x16x16_f16 v[208:211], v[130:131], v[166:167], v[208:211]// 000000006EA4: D3CD00D0 07434D82
	ds_write_b32 v20, v52 offset:17408                         // 000000006EAC: D81A4400 00003414
	ds_write_b32 v20, v53 offset:17952                         // 000000006EB4: D81A4620 00003514
	v_mfma_f32_16x16x16_f16 v[212:215], v[124:125], v[168:169], v[212:215]// 000000006EBC: D3CD00D4 0753517C
	v_subrev_f32_dpp v88, v177, v88 quad_perm:[0,0,0,0] row_mask:0xf bank_mask:0xf// 000000006EC4: 06B0B0FA FF0000B1
	v_subrev_f32_dpp v89, v177, v89 quad_perm:[1,1,1,1] row_mask:0xf bank_mask:0xf// 000000006ECC: 06B2B2FA FF0055B1
	v_subrev_f32_dpp v90, v177, v90 quad_perm:[2,2,2,2] row_mask:0xf bank_mask:0xf// 000000006ED4: 06B4B4FA FF00AAB1
	v_subrev_f32_dpp v91, v177, v91 quad_perm:[3,3,3,3] row_mask:0xf bank_mask:0xf// 000000006EDC: 06B6B6FA FF00FFB1
	v_subrev_f32_dpp v92, v177, v92 quad_perm:[0,0,0,0] row_mask:0xf bank_mask:0xf// 000000006EE4: 06B8B8FA FF0000B1
	v_subrev_f32_dpp v93, v177, v93 quad_perm:[1,1,1,1] row_mask:0xf bank_mask:0xf// 000000006EEC: 06BABAFA FF0055B1
	v_mfma_f32_16x16x16_f16 v[216:219], v[126:127], v[168:169], v[216:219]// 000000006EF4: D3CD00D8 0763517E
	ds_write_b32 v20, v54 offset:19712                         // 000000006EFC: D81A4D00 00003614
	ds_write_b32 v20, v55 offset:20256                         // 000000006F04: D81A4F20 00003714
	v_mfma_f32_16x16x16_f16 v[220:223], v[128:129], v[168:169], v[220:223]// 000000006F0C: D3CD00DC 07735180
	v_subrev_f32_dpp v94, v177, v94 quad_perm:[2,2,2,2] row_mask:0xf bank_mask:0xf// 000000006F14: 06BCBCFA FF00AAB1
	v_subrev_f32_dpp v95, v177, v95 quad_perm:[3,3,3,3] row_mask:0xf bank_mask:0xf// 000000006F1C: 06BEBEFA FF00FFB1
	v_subrev_f32_dpp v96, v177, v96 quad_perm:[0,0,0,0] row_mask:0xf bank_mask:0xf// 000000006F24: 06C0C0FA FF0000B1
	v_subrev_f32_dpp v97, v177, v97 quad_perm:[1,1,1,1] row_mask:0xf bank_mask:0xf// 000000006F2C: 06C2C2FA FF0055B1
	v_subrev_f32_dpp v98, v177, v98 quad_perm:[2,2,2,2] row_mask:0xf bank_mask:0xf// 000000006F34: 06C4C4FA FF00AAB1
	v_subrev_f32_dpp v99, v177, v99 quad_perm:[3,3,3,3] row_mask:0xf bank_mask:0xf// 000000006F3C: 06C6C6FA FF00FFB1
	v_mfma_f32_16x16x16_f16 v[224:227], v[130:131], v[168:169], v[224:227]// 000000006F44: D3CD00E0 07835182
	ds_write_b32 v20, v56 offset:22016                         // 000000006F4C: D81A5600 00003814
	ds_write_b32 v20, v57 offset:22560                         // 000000006F54: D81A5820 00003914
	v_mfma_f32_16x16x16_f16 v[180:183], v[132:133], v[170:171], v[180:183]// 000000006F5C: D3CD00B4 06D35584
	v_mul_f32_e32 v88, v64, v88                                // 000000006F64: 0AB0B140
	v_mul_f32_e32 v89, v65, v89                                // 000000006F68: 0AB2B341
	v_mul_f32_e32 v90, v66, v90                                // 000000006F6C: 0AB4B542
	v_mul_f32_e32 v91, v67, v91                                // 000000006F70: 0AB6B743
	v_mul_f32_e32 v92, v68, v92                                // 000000006F74: 0AB8B944
	v_mul_f32_e32 v93, v69, v93                                // 000000006F78: 0ABABB45
	v_mfma_f32_16x16x16_f16 v[184:187], v[134:135], v[170:171], v[184:187]// 000000006F7C: D3CD00B8 06E35586
	v_mul_f32_e32 v94, v70, v94                                // 000000006F84: 0ABCBD46
	v_mul_f32_e32 v95, v71, v95                                // 000000006F88: 0ABEBF47
	v_mul_f32_e32 v96, v72, v96                                // 000000006F8C: 0AC0C148
	v_mul_f32_e32 v97, v73, v97                                // 000000006F90: 0AC2C349
	v_mul_f32_e32 v98, v74, v98                                // 000000006F94: 0AC4C54A
	v_mul_f32_e32 v99, v75, v99                                // 000000006F98: 0AC6C74B
	v_mfma_f32_16x16x16_f16 v[188:191], v[136:137], v[170:171], v[188:191]// 000000006F9C: D3CD00BC 06F35588
	v_cvt_pkrtz_f16_f32 v82, v88, v89                          // 000000006FA4: D2960052 0002B358
	v_cvt_pkrtz_f16_f32 v83, v90, v91                          // 000000006FAC: D2960053 0002B75A
	v_cvt_pkrtz_f16_f32 v84, v92, v93                          // 000000006FB4: D2960054 0002BB5C
	v_cvt_pkrtz_f16_f32 v85, v94, v95                          // 000000006FBC: D2960055 0002BF5E
	v_cvt_pkrtz_f16_f32 v86, v96, v97                          // 000000006FC4: D2960056 0002C360
	v_cvt_pkrtz_f16_f32 v87, v98, v99                          // 000000006FCC: D2960057 0002C762
	v_mfma_f32_16x16x16_f16 v[192:195], v[138:139], v[170:171], v[192:195]// 000000006FD4: D3CD00C0 0703558A
	v_mov_b32_dpp v18, v82 quad_perm:[1,0,3,2] row_mask:0xf bank_mask:0xf// 000000006FDC: 7E2402FA FF00B152
	v_perm_b32 v58, v18, v82, v17                              // 000000006FE4: D1ED003A 0446A512
	v_mov_b32_dpp v18, v83 quad_perm:[1,0,3,2] row_mask:0xf bank_mask:0xf// 000000006FEC: 7E2402FA FF00B153
	v_perm_b32 v59, v18, v83, v17                              // 000000006FF4: D1ED003B 0446A712
	v_mov_b32_dpp v18, v84 quad_perm:[1,0,3,2] row_mask:0xf bank_mask:0xf// 000000006FFC: 7E2402FA FF00B154
	v_perm_b32 v60, v18, v84, v17                              // 000000007004: D1ED003C 0446A912
	v_mfma_f32_16x16x16_f16 v[196:199], v[132:133], v[172:173], v[196:199]// 00000000700C: D3CD00C4 07135984
	v_mov_b32_dpp v18, v85 quad_perm:[1,0,3,2] row_mask:0xf bank_mask:0xf// 000000007014: 7E2402FA FF00B155
	v_perm_b32 v61, v18, v85, v17                              // 00000000701C: D1ED003D 0446AB12
	v_mov_b32_dpp v18, v86 quad_perm:[1,0,3,2] row_mask:0xf bank_mask:0xf// 000000007024: 7E2402FA FF00B156
	v_perm_b32 v62, v18, v86, v17                              // 00000000702C: D1ED003E 0446AD12
	v_mov_b32_dpp v18, v87 quad_perm:[1,0,3,2] row_mask:0xf bank_mask:0xf// 000000007034: 7E2402FA FF00B157
	v_perm_b32 v63, v18, v87, v17                              // 00000000703C: D1ED003F 0446AF12
	v_mfma_f32_16x16x16_f16 v[200:203], v[134:135], v[172:173], v[200:203]// 000000007044: D3CD00C8 07235986
	ds_write_b32 v20, v58 offset:24320                         // 00000000704C: D81A5F00 00003A14
	ds_write_b32 v20, v59 offset:24864                         // 000000007054: D81A6120 00003B14
	v_mfma_f32_16x16x16_f16 v[204:207], v[136:137], v[172:173], v[204:207]// 00000000705C: D3CD00CC 07335988
	v_mfma_f32_16x16x16_f16 v[208:211], v[138:139], v[172:173], v[208:211]// 000000007064: D3CD00D0 0743598A
	ds_write_b32 v20, v60 offset:26624                         // 00000000706C: D81A6800 00003C14
	ds_write_b32 v20, v61 offset:27168                         // 000000007074: D81A6A20 00003D14
	ds_write_b32 v20, v62 offset:28928                         // 00000000707C: D81A7100 00003E14
	ds_write_b32 v20, v63 offset:29472                         // 000000007084: D81A7320 00003F14
	v_mfma_f32_16x16x16_f16 v[212:215], v[132:133], v[174:175], v[212:215]// 00000000708C: D3CD00D4 07535D84
	v_mfma_f32_16x16x16_f16 v[216:219], v[134:135], v[174:175], v[216:219]// 000000007094: D3CD00D8 07635D86
	ds_write_b32 v15, v100 offset:4352                         // 00000000709C: D81A1100 0000640F
	ds_write_b32 v15, v101 offset:5408                         // 0000000070A4: D81A1520 0000650F
	v_mfma_f32_16x16x16_f16 v[220:223], v[136:137], v[174:175], v[220:223]// 0000000070AC: D3CD00DC 07735D88
	s_nop 0                                                    // 0000000070B4: BF800000
	s_nop 0                                                    // 0000000070B8: BF800000
	s_nop 0                                                    // 0000000070BC: BF800000
	v_mfma_f32_16x16x16_f16 v[224:227], v[138:139], v[174:175], v[224:227]// 0000000070C0: D3CD00E0 07835D8A
	ds_write_b32 v15, v102 offset:6528                         // 0000000070C8: D81A1980 0000660F
	ds_write_b32 v15, v103 offset:7584                         // 0000000070D0: D81A1DA0 0000670F
	s_barrier                                                  // 0000000070D8: BF8A0000
	v_mfma_f32_16x16x16_f16 a[112:115], a[96:97], v[76:77], a[112:115]// 0000000070DC: D3CD8070 0DC29960
	buffer_atomic_pk_add_f16 v156, v7, s[32:35], 0 idxen       // 0000000070E4: E1382000 80089C07
	v_mfma_f32_16x16x16_f16 a[116:119], a[98:99], v[76:77], a[116:119]// 0000000070EC: D3CD8074 0DD29962
	ds_read_b32 v140, v23 offset:35584                         // 0000000070F4: D86C8B00 8C000017
	ds_read_b32 v144, v23 offset:35648                         // 0000000070FC: D86C8B40 90000017
	ds_read_b32 v176, v23 offset:35840                         // 000000007104: D86C8C00 B0000017
	ds_read_b32 v177, v23 offset:35904                         // 00000000710C: D86C8C40 B1000017
	v_mfma_f32_16x16x16_f16 a[120:123], a[100:101], v[76:77], a[120:123]// 000000007114: D3CD8078 0DE29964
	s_waitcnt lgkmcnt(8)                                       // 00000000711C: BF8CC87F
	s_barrier                                                  // 000000007120: BF8A0000
	v_mfma_f32_16x16x16_f16 a[124:127], a[102:103], v[76:77], a[124:127]// 000000007124: D3CD807C 0DF29966
	ds_read_b128 v[52:55], v19 offset:17408                    // 00000000712C: D9FE4400 34000013
	v_mfma_f32_16x16x16_f16 a[128:131], a[96:97], v[78:79], a[128:131]// 000000007134: D3CD8080 0E029D60
	v_mfma_f32_16x16x16_f16 a[132:135], a[98:99], v[78:79], a[132:135]// 00000000713C: D3CD8084 0E129D62
	ds_read_b128 v[56:59], v19 offset:18560                    // 000000007144: D9FE4880 38000013
	v_mfma_f32_16x16x16_f16 a[136:139], a[100:101], v[78:79], a[136:139]// 00000000714C: D3CD8088 0E229D64
	buffer_atomic_pk_add_f16 v157, v8, s[32:35], 0 idxen       // 000000007154: E1382000 80089D08
	v_mfma_f32_16x16x16_f16 a[140:143], a[102:103], v[78:79], a[140:143]// 00000000715C: D3CD808C 0E329D66
	ds_read_b128 v[60:63], v19 offset:19712                    // 000000007164: D9FE4D00 3C000013
	v_mfma_f32_16x16x16_f16 a[144:147], a[96:97], v[80:81], a[144:147]// 00000000716C: D3CD8090 0E42A160
	v_mfma_f32_16x16x16_f16 a[148:151], a[98:99], v[80:81], a[148:151]// 000000007174: D3CD8094 0E52A162
	ds_read_b128 v[64:67], v19 offset:20864                    // 00000000717C: D9FE5180 40000013
	v_mfma_f32_16x16x16_f16 a[152:155], a[100:101], v[80:81], a[152:155]// 000000007184: D3CD8098 0E62A164
	v_mfma_f32_16x16x16_f16 a[156:159], a[102:103], v[80:81], a[156:159]// 00000000718C: D3CD809C 0E72A166
	ds_read_b128 v[68:71], v19 offset:22016                    // 000000007194: D9FE5600 44000013
	v_mfma_f32_16x16x16_f16 a[112:115], a[104:105], v[82:83], a[112:115]// 00000000719C: D3CD8070 0DC2A568
	buffer_atomic_pk_add_f16 v158, v9, s[32:35], 0 idxen       // 0000000071A4: E1382000 80089E09
	v_mfma_f32_16x16x16_f16 a[116:119], a[106:107], v[82:83], a[116:119]// 0000000071AC: D3CD8074 0DD2A56A
	ds_read_b128 v[72:75], v19 offset:23168                    // 0000000071B4: D9FE5A80 48000013
	v_mfma_f32_16x16x16_f16 a[120:123], a[108:109], v[82:83], a[120:123]// 0000000071BC: D3CD8078 0DE2A56C
	v_mfma_f32_16x16x16_f16 a[124:127], a[110:111], v[82:83], a[124:127]// 0000000071C4: D3CD807C 0DF2A56E
	ds_write_b32 v15, v104 offset:13056                        // 0000000071CC: D81A3300 0000680F
	v_mfma_f32_16x16x16_f16 a[128:131], a[104:105], v[84:85], a[128:131]// 0000000071D4: D3CD8080 0E02A968
	v_mfma_f32_16x16x16_f16 a[132:135], a[106:107], v[84:85], a[132:135]// 0000000071DC: D3CD8084 0E12A96A
	ds_write_b32 v15, v105 offset:14112                        // 0000000071E4: D81A3720 0000690F
	v_mfma_f32_16x16x16_f16 a[136:139], a[108:109], v[84:85], a[136:139]// 0000000071EC: D3CD8088 0E22A96C
	buffer_atomic_pk_add_f16 v159, v10, s[32:35], 0 idxen      // 0000000071F4: E1382000 80089F0A
	v_mfma_f32_16x16x16_f16 a[140:143], a[110:111], v[84:85], a[140:143]// 0000000071FC: D3CD808C 0E32A96E
	ds_write_b32 v15, v106 offset:15232                        // 000000007204: D81A3B80 00006A0F
	v_mfma_f32_16x16x16_f16 a[144:147], a[104:105], v[86:87], a[144:147]// 00000000720C: D3CD8090 0E42AD68
	v_mfma_f32_16x16x16_f16 a[148:151], a[106:107], v[86:87], a[148:151]// 000000007214: D3CD8094 0E52AD6A
	ds_write_b32 v15, v107 offset:16288                        // 00000000721C: D81A3FA0 00006B0F
	v_mfma_f32_16x16x16_f16 a[152:155], a[108:109], v[86:87], a[152:155]// 000000007224: D3CD8098 0E62AD6C
	v_mfma_f32_16x16x16_f16 a[156:159], a[110:111], v[86:87], a[156:159]// 00000000722C: D3CD809C 0E72AD6E
	s_waitcnt vmcnt(4) lgkmcnt(4)                              // 000000007234: BF8C0474
	s_barrier                                                  // 000000007238: BF8A0000
	v_mfma_f32_16x16x16_f16 v[148:151], a[24:25], v[52:53], 0  // 00000000723C: D3CD0094 0A026918
	v_mul_f32_e32 v140, s49, v140                              // 000000007244: 0B191831
	v_mul_f32_e32 v144, s49, v144                              // 000000007248: 0B212031
	s_nop 0                                                    // 00000000724C: BF800000
	v_mfma_f32_16x16x16_f16 v[148:151], a[28:29], v[54:55], v[148:151]// 000000007250: D3CD0094 0E526D1C
	ds_read_b128 a[96:99], v12                                 // 000000007258: DBFE0000 6000000C
	buffer_load_dword v36, v1, s[8:11], 0 idxen                // 000000007260: E0502000 80022401
	v_mfma_f32_16x16x16_f16 v[148:151], a[32:33], v[56:57], v[148:151]// 000000007268: D3CD0094 0E527120
	v_mfma_f32_16x16x16_f16 v[148:151], a[36:37], v[58:59], v[148:151]// 000000007270: D3CD0094 0E527524
	ds_read_b128 a[100:103], v12 offset:512                    // 000000007278: DBFE0200 6400000C
	buffer_load_dword v37, v2, s[8:11], 0 idxen                // 000000007280: E0502000 80022502
	v_mfma_f32_16x16x16_f16 v[148:151], a[40:41], v[60:61], v[148:151]// 000000007288: D3CD0094 0E527928
	v_perm_b32 v100, v41, v40, s63                             // 000000007290: D1ED0064 00FE5129
	v_perm_b32 v101, v41, v40, s64                             // 000000007298: D1ED0065 01025129
	v_mfma_f32_16x16x16_f16 v[148:151], a[44:45], v[62:63], v[148:151]// 0000000072A0: D3CD0094 0E527D2C
	ds_read_b128 a[104:107], v12 offset:2176                   // 0000000072A8: DBFE0880 6800000C
	buffer_load_dword v38, v3, s[8:11], 0 idxen                // 0000000072B0: E0502000 80022603
	v_mfma_f32_16x16x16_f16 v[148:151], a[48:49], v[64:65], v[148:151]// 0000000072B8: D3CD0094 0E528130
	v_perm_b32 v102, v43, v42, s63                             // 0000000072C0: D1ED0066 00FE552B
	v_perm_b32 v103, v43, v42, s64                             // 0000000072C8: D1ED0067 0102552B
	v_mfma_f32_16x16x16_f16 v[148:151], a[52:53], v[66:67], v[148:151]// 0000000072D0: D3CD0094 0E528534
	ds_read_b128 a[108:111], v12 offset:2688                   // 0000000072D8: DBFE0A80 6C00000C
	buffer_load_dword v39, v4, s[8:11], 0 idxen                // 0000000072E0: E0502000 80022704
	v_mfma_f32_16x16x16_f16 v[148:151], a[56:57], v[68:69], v[148:151]// 0000000072E8: D3CD0094 0E528938
	v_perm_b32 v104, v49, v48, s63                             // 0000000072F0: D1ED0068 00FE6131
	v_perm_b32 v105, v49, v48, s64                             // 0000000072F8: D1ED0069 01026131
	v_mfma_f32_16x16x16_f16 v[148:151], a[60:61], v[70:71], v[148:151]// 000000007300: D3CD0094 0E528D3C
	ds_read_b128 v[108:111], v12 offset:8704                   // 000000007308: D9FE2200 6C00000C
	buffer_load_dword v44, v1, s[20:23], 0 idxen               // 000000007310: E0502000 80052C01
	v_mfma_f32_16x16x16_f16 v[148:151], a[64:65], v[72:73], v[148:151]// 000000007318: D3CD0094 0E529140
	v_perm_b32 v106, v51, v50, s63                             // 000000007320: D1ED006A 00FE6533
	v_perm_b32 v107, v51, v50, s64                             // 000000007328: D1ED006B 01026533
	v_mfma_f32_16x16x16_f16 v[148:151], a[68:69], v[74:75], v[148:151]// 000000007330: D3CD0094 0E529544
	ds_read_b128 v[112:115], v12 offset:9216                   // 000000007338: D9FE2400 7000000C
	buffer_load_dword v45, v2, s[20:23], 0 idxen               // 000000007340: E0502000 80052D02
	v_mfma_f32_16x16x16_f16 v[152:155], a[26:27], v[52:53], 0  // 000000007348: D3CD0098 0A02691A
	v_mov_b32_dpp v143, v140 quad_perm:[3,3,3,3] row_mask:0xf bank_mask:0xf// 000000007350: 7F1E02FA FF00FF8C
	v_mov_b32_dpp v142, v140 quad_perm:[2,2,2,2] row_mask:0xf bank_mask:0xf// 000000007358: 7F1C02FA FF00AA8C
	v_mov_b32_dpp v141, v140 quad_perm:[1,1,1,1] row_mask:0xf bank_mask:0xf// 000000007360: 7F1A02FA FF00558C
	v_mov_b32_dpp v140, v140 quad_perm:[0,0,0,0] row_mask:0xf bank_mask:0xf// 000000007368: 7F1802FA FF00008C
	v_mfma_f32_16x16x16_f16 v[152:155], a[30:31], v[54:55], v[152:155]// 000000007370: D3CD0098 0E626D1E
	ds_read_b128 v[116:119], v12 offset:10880                  // 000000007378: D9FE2A80 7400000C
	buffer_load_dword v46, v3, s[20:23], 0 idxen               // 000000007380: E0502000 80052E03
	v_mfma_f32_16x16x16_f16 v[152:155], a[34:35], v[56:57], v[152:155]// 000000007388: D3CD0098 0E627122
	v_mov_b32_dpp v147, v144 quad_perm:[3,3,3,3] row_mask:0xf bank_mask:0xf// 000000007390: 7F2602FA FF00FF90
	v_mov_b32_dpp v146, v144 quad_perm:[2,2,2,2] row_mask:0xf bank_mask:0xf// 000000007398: 7F2402FA FF00AA90
	v_mov_b32_dpp v145, v144 quad_perm:[1,1,1,1] row_mask:0xf bank_mask:0xf// 0000000073A0: 7F2202FA FF005590
	v_mov_b32_dpp v144, v144 quad_perm:[0,0,0,0] row_mask:0xf bank_mask:0xf// 0000000073A8: 7F2002FA FF000090
	s_add_u32 s60, 0x80, s59                                   // 0000000073B0: 803C3BFF 00000080
	v_mfma_f32_16x16x16_f16 v[152:155], a[38:39], v[58:59], v[152:155]// 0000000073B8: D3CD0098 0E627526
	ds_read_b128 v[120:123], v12 offset:11392                  // 0000000073C0: D9FE2C80 7800000C
	buffer_load_dword v47, v4, s[20:23], 0 idxen               // 0000000073C8: E0502000 80052F04
	v_mfma_f32_16x16x16_f16 v[152:155], a[42:43], v[60:61], v[152:155]// 0000000073D0: D3CD0098 0E62792A
	s_cmp_lt_u32 s60, s58                                      // 0000000073D8: BF0A3A3C
	s_cselect_b32 s68, s68, 0                                  // 0000000073DC: 85448044
	s_cselect_b32 s69, s69, 0                                  // 0000000073E0: 85458045
	v_mfma_f32_16x16x16_f16 v[152:155], a[46:47], v[62:63], v[152:155]// 0000000073E4: D3CD0098 0E627D2E
	buffer_load_dword v11, s[24:27], 0 idxen lds               // 0000000073EC: E0512000 8006000B
	v_mfma_f32_16x16x16_f16 v[152:155], a[50:51], v[64:65], v[152:155]// 0000000073F4: D3CD0098 0E628132
	s_add_u32 s8, s68, s8                                      // 0000000073FC: 80080844
	s_addc_u32 s9, 0, s9                                       // 000000007400: 82090980
	v_mfma_f32_16x16x16_f16 v[152:155], a[54:55], v[66:67], v[152:155]// 000000007404: D3CD0098 0E628536
	s_add_u32 s20, s68, s20                                    // 00000000740C: 80141444
	s_addc_u32 s21, 0, s21                                     // 000000007410: 82151580
	v_mfma_f32_16x16x16_f16 v[152:155], a[58:59], v[68:69], v[152:155]// 000000007414: D3CD0098 0E62893A
	s_mov_b32 m0, s79                                          // 00000000741C: BEFC004F
	v_add_u32_e32 v11, s69, v11                                // 000000007420: 68161645
	v_mfma_f32_16x16x16_f16 v[152:155], a[62:63], v[70:71], v[152:155]// 000000007424: D3CD0098 0E628D3E
	s_cmp_ge_u32 s59, s73                                      // 00000000742C: BF09493B
	s_cselect_b32 s66, s67, s66                                // 000000007430: 85424243
	v_mfma_f32_16x16x16_f16 v[152:155], a[66:67], v[72:73], v[152:155]// 000000007434: D3CD0098 0E629142
	s_addk_i32 s59, 0x20                                       // 00000000743C: B73B0020
	s_nop 0                                                    // 000000007440: BF800000
	s_cmp_lt_i32 s59, s58                                      // 000000007444: BF043A3B
	v_mfma_f32_16x16x16_f16 v[152:155], a[70:71], v[74:75], v[152:155]// 000000007448: D3CD0098 0E629546
	s_cbranch_scc0 label_0D16                                  // 000000007450: BF840001
	s_branch label_05B7                                        // 000000007454: BF82F8A1

0000000000007458 <label_0D16>:
	s_nop 0                                                    // 000000007458: BF800000
	s_nop 0                                                    // 00000000745C: BF800000
	s_branch label_1478                                        // 000000007460: BF82075F

0000000000007464 <label_0D19>:
	s_waitcnt lgkmcnt(4)                                       // 000000007464: BF8CC47F
	s_barrier                                                  // 000000007468: BF8A0000
	v_mfma_f32_16x16x16_f16 v[52:55], a[96:97], a[0:1], 0      // 00000000746C: D3CD0034 1A020160
	v_mul_f32_e32 v148, s48, v148                              // 000000007474: 0B292830
	v_mul_f32_e32 v149, s48, v149                              // 000000007478: 0B2B2A30
	v_mfma_f32_16x16x16_f16 v[52:55], a[98:99], a[2:3], v[52:55]// 00000000747C: D3CD0034 1CD20562
	ds_write_b32 v13, v48 offset:8704                          // 000000007484: D81A2200 0000300D
	ds_write_b32 v13, v49 offset:9760                          // 00000000748C: D81A2620 0000310D
	v_mfma_f32_16x16x16_f16 v[52:55], a[100:101], a[4:5], v[52:55]// 000000007494: D3CD0034 1CD20964
	v_mul_f32_e32 v150, s48, v150                              // 00000000749C: 0B2D2C30
	v_mul_f32_e32 v151, s48, v151                              // 0000000074A0: 0B2F2E30
	v_mfma_f32_16x16x16_f16 v[52:55], a[102:103], a[6:7], v[52:55]// 0000000074A4: D3CD0034 1CD20D66
	ds_write_b32 v13, v50 offset:10880                         // 0000000074AC: D81A2A80 0000320D
	ds_write_b32 v13, v51 offset:11936                         // 0000000074B4: D81A2EA0 0000330D
	v_mfma_f32_16x16x16_f16 v[56:59], a[96:97], a[8:9], 0      // 0000000074BC: D3CD0038 1A021160
	v_mul_f32_e32 v152, s48, v152                              // 0000000074C4: 0B313030
	v_mul_f32_e32 v153, s48, v153                              // 0000000074C8: 0B333230
	v_mfma_f32_16x16x16_f16 v[56:59], a[98:99], a[10:11], v[56:59]// 0000000074CC: D3CD0038 1CE21562
	v_mul_f32_e32 v154, s48, v154                              // 0000000074D4: 0B353430
	v_mul_f32_e32 v155, s48, v155                              // 0000000074D8: 0B373630
	v_mfma_f32_16x16x16_f16 v[56:59], a[100:101], a[12:13], v[56:59]// 0000000074DC: D3CD0038 1CE21964
	v_cvt_pkrtz_f16_f32 v148, v148, v149                       // 0000000074E4: D2960094 00032B94
	v_cvt_pkrtz_f16_f32 v149, v150, v151                       // 0000000074EC: D2960095 00032F96
	v_mfma_f32_16x16x16_f16 v[56:59], a[102:103], a[14:15], v[56:59]// 0000000074F4: D3CD0038 1CE21D66
	v_cvt_pkrtz_f16_f32 v150, v152, v153                       // 0000000074FC: D2960096 00033398
	v_cvt_pkrtz_f16_f32 v151, v154, v155                       // 000000007504: D2960097 0003379A
	v_mfma_f32_16x16x16_f16 v[60:63], a[96:97], a[16:17], 0    // 00000000750C: D3CD003C 1A022160
	v_mfma_f32_16x16x16_f16 v[60:63], a[98:99], a[18:19], v[60:63]// 000000007514: D3CD003C 1CF22562
	ds_write_b64 v22, v[148:149] offset:31232                  // 00000000751C: D89A7A00 00009416
	v_mfma_f32_16x16x16_f16 v[60:63], a[100:101], a[20:21], v[60:63]// 000000007524: D3CD003C 1CF22964
	v_mfma_f32_16x16x16_f16 v[60:63], a[102:103], a[22:23], v[60:63]// 00000000752C: D3CD003C 1CF22D66
	ds_write_b64 v22, v[150:151] offset:31776                  // 000000007534: D89A7C20 00009616
	v_mfma_f32_16x16x16_f16 v[64:67], a[104:105], a[0:1], 0    // 00000000753C: D3CD0040 1A020168
	v_mfma_f32_16x16x16_f16 v[64:67], a[106:107], a[2:3], v[64:67]// 000000007544: D3CD0040 1D02056A
	ds_read_b128 v[124:127], v14 offset:13056                  // 00000000754C: D9FE3300 7C00000E
	ds_write_b32 v13, v40                                      // 000000007554: D81A0000 0000280D
	v_mfma_f32_16x16x16_f16 v[64:67], a[108:109], a[4:5], v[64:67]// 00000000755C: D3CD0040 1D02096C
	v_mfma_f32_16x16x16_f16 v[64:67], a[110:111], a[6:7], v[64:67]// 000000007564: D3CD0040 1D020D6E
	v_mfma_f32_16x16x16_f16 v[68:71], a[104:105], a[8:9], 0    // 00000000756C: D3CD0044 1A021168
	ds_read_b128 v[128:131], v14 offset:13568                  // 000000007574: D9FE3500 8000000E
	ds_write_b32 v13, v41 offset:1056                          // 00000000757C: D81A0420 0000290D
	v_mfma_f32_16x16x16_f16 v[68:71], a[106:107], a[10:11], v[68:71]// 000000007584: D3CD0044 1D12156A
	v_mfma_f32_16x16x16_f16 v[68:71], a[108:109], a[12:13], v[68:71]// 00000000758C: D3CD0044 1D12196C
	v_mfma_f32_16x16x16_f16 v[68:71], a[110:111], a[14:15], v[68:71]// 000000007594: D3CD0044 1D121D6E
	ds_read_b128 v[132:135], v14 offset:15232                  // 00000000759C: D9FE3B80 8400000E
	ds_write_b32 v13, v42 offset:2176                          // 0000000075A4: D81A0880 00002A0D
	v_mfma_f32_16x16x16_f16 v[72:75], a[104:105], a[16:17], 0  // 0000000075AC: D3CD0048 1A022168
	v_mfma_f32_16x16x16_f16 v[72:75], a[106:107], a[18:19], v[72:75]// 0000000075B4: D3CD0048 1D22256A
	v_mfma_f32_16x16x16_f16 v[72:75], a[108:109], a[20:21], v[72:75]// 0000000075BC: D3CD0048 1D22296C
	ds_read_b128 v[136:139], v14 offset:15744                  // 0000000075C4: D9FE3D80 8800000E
	ds_write_b32 v13, v43 offset:3232                          // 0000000075CC: D81A0CA0 00002B0D
	v_mfma_f32_16x16x16_f16 v[72:75], a[110:111], a[22:23], v[72:75]// 0000000075D4: D3CD0048 1D222D6E
	s_cmp_lt_i32 s74, 12                                       // 0000000075DC: BF048C4A
	s_cbranch_scc0 label_0E5F                                  // 0000000075E0: BF8400E6
	s_mov_b32 s60, 0xffe0fffe                                  // 0000000075E4: BEBC00FF FFE0FFFE
	s_mov_b32 s61, 0xe000fe00                                  // 0000000075EC: BEBD00FF E000FE00
	s_nop 0                                                    // 0000000075F4: BF800000
	s_add_u32 s62, 0, s47                                      // 0000000075F8: 803E2F80
	s_cmp_lt_i32 s74, s62                                      // 0000000075FC: BF043E4A
	s_cbranch_scc1 label_0DA9                                  // 000000007600: BF850028
	s_cmp_eq_i32 s74, s62                                      // 000000007604: BF003E4A
	s_cbranch_scc1 label_0D8E                                  // 000000007608: BF85000B
	s_add_u32 s62, 4, s47                                      // 00000000760C: 803E2F84
	s_cmp_lt_i32 s74, s62                                      // 000000007610: BF043E4A
	s_cbranch_scc1 label_0DC9                                  // 000000007614: BF850043
	s_cmp_eq_i32 s74, s62                                      // 000000007618: BF003E4A
	s_cbranch_scc1 label_0DAE                                  // 00000000761C: BF850026
	s_add_u32 s62, 8, s47                                      // 000000007620: 803E2F88
	s_cmp_lt_i32 s74, s62                                      // 000000007624: BF043E4A
	s_cbranch_scc1 label_0DE9                                  // 000000007628: BF85005E
	s_cmp_eq_i32 s74, s62                                      // 00000000762C: BF003E4A
	s_cbranch_scc1 label_0DCE                                  // 000000007630: BF850041
	s_branch label_0DEE                                        // 000000007634: BF820060

0000000000007638 <label_0D8E>:
	v_cndmask_b32_e64 v52, v52, v178, s[60:61]                 // 000000007638: D1000034 00F36534
	s_lshl_b32 s60, s60, 1                                     // 000000007640: 8E3C813C
	s_lshl_b32 s61, s61, 1                                     // 000000007644: 8E3D813D
	s_and_b32 s60, 0xfffeffff, s60                             // 000000007648: 863C3CFF FFFEFFFF
	s_and_b32 s61, 0xfffeffff, s61                             // 000000007650: 863D3DFF FFFEFFFF
	v_cndmask_b32_e64 v53, v53, v178, s[60:61]                 // 000000007658: D1000035 00F36535
	s_lshl_b32 s60, s60, 1                                     // 000000007660: 8E3C813C
	s_lshl_b32 s61, s61, 1                                     // 000000007664: 8E3D813D
	s_and_b32 s60, 0xfffeffff, s60                             // 000000007668: 863C3CFF FFFEFFFF
	s_and_b32 s61, 0xfffeffff, s61                             // 000000007670: 863D3DFF FFFEFFFF
	v_cndmask_b32_e64 v54, v54, v178, s[60:61]                 // 000000007678: D1000036 00F36536
	s_lshl_b32 s60, s60, 1                                     // 000000007680: 8E3C813C
	s_lshl_b32 s61, s61, 1                                     // 000000007684: 8E3D813D
	s_and_b32 s60, 0xfffeffff, s60                             // 000000007688: 863C3CFF FFFEFFFF
	s_and_b32 s61, 0xfffeffff, s61                             // 000000007690: 863D3DFF FFFEFFFF
	v_cndmask_b32_e64 v55, v55, v178, s[60:61]                 // 000000007698: D1000037 00F36537
	s_branch label_0DC9                                        // 0000000076A0: BF820020

00000000000076a4 <label_0DA9>:
	v_mov_b32_e32 v52, v178                                    // 0000000076A4: 7E6803B2
	v_mov_b32_e32 v53, v178                                    // 0000000076A8: 7E6A03B2
	v_mov_b32_e32 v54, v178                                    // 0000000076AC: 7E6C03B2
	v_mov_b32_e32 v55, v178                                    // 0000000076B0: 7E6E03B2
	s_branch label_0DC9                                        // 0000000076B4: BF82001B

00000000000076b8 <label_0DAE>:
	v_cndmask_b32_e64 v56, v56, v178, s[60:61]                 // 0000000076B8: D1000038 00F36538
	s_lshl_b32 s60, s60, 1                                     // 0000000076C0: 8E3C813C
	s_lshl_b32 s61, s61, 1                                     // 0000000076C4: 8E3D813D
	s_and_b32 s60, 0xfffeffff, s60                             // 0000000076C8: 863C3CFF FFFEFFFF
	s_and_b32 s61, 0xfffeffff, s61                             // 0000000076D0: 863D3DFF FFFEFFFF
	v_cndmask_b32_e64 v57, v57, v178, s[60:61]                 // 0000000076D8: D1000039 00F36539
	s_lshl_b32 s60, s60, 1                                     // 0000000076E0: 8E3C813C
	s_lshl_b32 s61, s61, 1                                     // 0000000076E4: 8E3D813D
	s_and_b32 s60, 0xfffeffff, s60                             // 0000000076E8: 863C3CFF FFFEFFFF
	s_and_b32 s61, 0xfffeffff, s61                             // 0000000076F0: 863D3DFF FFFEFFFF
	v_cndmask_b32_e64 v58, v58, v178, s[60:61]                 // 0000000076F8: D100003A 00F3653A
	s_lshl_b32 s60, s60, 1                                     // 000000007700: 8E3C813C
	s_lshl_b32 s61, s61, 1                                     // 000000007704: 8E3D813D
	s_and_b32 s60, 0xfffeffff, s60                             // 000000007708: 863C3CFF FFFEFFFF
	s_and_b32 s61, 0xfffeffff, s61                             // 000000007710: 863D3DFF FFFEFFFF
	v_cndmask_b32_e64 v59, v59, v178, s[60:61]                 // 000000007718: D100003B 00F3653B
	s_branch label_0DE9                                        // 000000007720: BF820020

0000000000007724 <label_0DC9>:
	v_mov_b32_e32 v56, v178                                    // 000000007724: 7E7003B2
	v_mov_b32_e32 v57, v178                                    // 000000007728: 7E7203B2
	v_mov_b32_e32 v58, v178                                    // 00000000772C: 7E7403B2
	v_mov_b32_e32 v59, v178                                    // 000000007730: 7E7603B2
	s_branch label_0DE9                                        // 000000007734: BF82001B

0000000000007738 <label_0DCE>:
	v_cndmask_b32_e64 v60, v60, v178, s[60:61]                 // 000000007738: D100003C 00F3653C
	s_lshl_b32 s60, s60, 1                                     // 000000007740: 8E3C813C
	s_lshl_b32 s61, s61, 1                                     // 000000007744: 8E3D813D
	s_and_b32 s60, 0xfffeffff, s60                             // 000000007748: 863C3CFF FFFEFFFF
	s_and_b32 s61, 0xfffeffff, s61                             // 000000007750: 863D3DFF FFFEFFFF
	v_cndmask_b32_e64 v61, v61, v178, s[60:61]                 // 000000007758: D100003D 00F3653D
	s_lshl_b32 s60, s60, 1                                     // 000000007760: 8E3C813C
	s_lshl_b32 s61, s61, 1                                     // 000000007764: 8E3D813D
	s_and_b32 s60, 0xfffeffff, s60                             // 000000007768: 863C3CFF FFFEFFFF
	s_and_b32 s61, 0xfffeffff, s61                             // 000000007770: 863D3DFF FFFEFFFF
	v_cndmask_b32_e64 v62, v62, v178, s[60:61]                 // 000000007778: D100003E 00F3653E
	s_lshl_b32 s60, s60, 1                                     // 000000007780: 8E3C813C
	s_lshl_b32 s61, s61, 1                                     // 000000007784: 8E3D813D
	s_and_b32 s60, 0xfffeffff, s60                             // 000000007788: 863C3CFF FFFEFFFF
	s_and_b32 s61, 0xfffeffff, s61                             // 000000007790: 863D3DFF FFFEFFFF
	v_cndmask_b32_e64 v63, v63, v178, s[60:61]                 // 000000007798: D100003F 00F3653F
	s_branch label_0DEE                                        // 0000000077A0: BF820005

00000000000077a4 <label_0DE9>:
	v_mov_b32_e32 v60, v178                                    // 0000000077A4: 7E7803B2
	v_mov_b32_e32 v61, v178                                    // 0000000077A8: 7E7A03B2
	v_mov_b32_e32 v62, v178                                    // 0000000077AC: 7E7C03B2
	v_mov_b32_e32 v63, v178                                    // 0000000077B0: 7E7E03B2
	s_branch label_0DEE                                        // 0000000077B4: BF820000

00000000000077b8 <label_0DEE>:
	s_addk_i32 s74, 0x1                                        // 0000000077B8: B74A0001
	s_add_u32 s62, 0, s47                                      // 0000000077BC: 803E2F80
	s_cmp_lt_i32 s74, s62                                      // 0000000077C0: BF043E4A
	s_cbranch_scc1 label_0E1A                                  // 0000000077C4: BF850028
	s_cmp_eq_i32 s74, s62                                      // 0000000077C8: BF003E4A
	s_cbranch_scc1 label_0DFF                                  // 0000000077CC: BF85000B
	s_add_u32 s62, 4, s47                                      // 0000000077D0: 803E2F84
	s_cmp_lt_i32 s74, s62                                      // 0000000077D4: BF043E4A
	s_cbranch_scc1 label_0E3A                                  // 0000000077D8: BF850043
	s_cmp_eq_i32 s74, s62                                      // 0000000077DC: BF003E4A
	s_cbranch_scc1 label_0E1F                                  // 0000000077E0: BF850026
	s_add_u32 s62, 8, s47                                      // 0000000077E4: 803E2F88
	s_cmp_lt_i32 s74, s62                                      // 0000000077E8: BF043E4A
	s_cbranch_scc1 label_0E5A                                  // 0000000077EC: BF85005E
	s_cmp_eq_i32 s74, s62                                      // 0000000077F0: BF003E4A
	s_cbranch_scc1 label_0E3F                                  // 0000000077F4: BF850041
	s_branch label_0E5F                                        // 0000000077F8: BF820060

00000000000077fc <label_0DFF>:
	v_cndmask_b32_e64 v64, v64, v178, s[60:61]                 // 0000000077FC: D1000040 00F36540
	s_lshl_b32 s60, s60, 1                                     // 000000007804: 8E3C813C
	s_lshl_b32 s61, s61, 1                                     // 000000007808: 8E3D813D
	s_and_b32 s60, 0xfffeffff, s60                             // 00000000780C: 863C3CFF FFFEFFFF
	s_and_b32 s61, 0xfffeffff, s61                             // 000000007814: 863D3DFF FFFEFFFF
	v_cndmask_b32_e64 v65, v65, v178, s[60:61]                 // 00000000781C: D1000041 00F36541
	s_lshl_b32 s60, s60, 1                                     // 000000007824: 8E3C813C
	s_lshl_b32 s61, s61, 1                                     // 000000007828: 8E3D813D
	s_and_b32 s60, 0xfffeffff, s60                             // 00000000782C: 863C3CFF FFFEFFFF
	s_and_b32 s61, 0xfffeffff, s61                             // 000000007834: 863D3DFF FFFEFFFF
	v_cndmask_b32_e64 v66, v66, v178, s[60:61]                 // 00000000783C: D1000042 00F36542
	s_lshl_b32 s60, s60, 1                                     // 000000007844: 8E3C813C
	s_lshl_b32 s61, s61, 1                                     // 000000007848: 8E3D813D
	s_and_b32 s60, 0xfffeffff, s60                             // 00000000784C: 863C3CFF FFFEFFFF
	s_and_b32 s61, 0xfffeffff, s61                             // 000000007854: 863D3DFF FFFEFFFF
	v_cndmask_b32_e64 v67, v67, v178, s[60:61]                 // 00000000785C: D1000043 00F36543
	s_branch label_0E3A                                        // 000000007864: BF820020

0000000000007868 <label_0E1A>:
	v_mov_b32_e32 v64, v178                                    // 000000007868: 7E8003B2
	v_mov_b32_e32 v65, v178                                    // 00000000786C: 7E8203B2
	v_mov_b32_e32 v66, v178                                    // 000000007870: 7E8403B2
	v_mov_b32_e32 v67, v178                                    // 000000007874: 7E8603B2
	s_branch label_0E3A                                        // 000000007878: BF82001B

000000000000787c <label_0E1F>:
	v_cndmask_b32_e64 v68, v68, v178, s[60:61]                 // 00000000787C: D1000044 00F36544
	s_lshl_b32 s60, s60, 1                                     // 000000007884: 8E3C813C
	s_lshl_b32 s61, s61, 1                                     // 000000007888: 8E3D813D
	s_and_b32 s60, 0xfffeffff, s60                             // 00000000788C: 863C3CFF FFFEFFFF
	s_and_b32 s61, 0xfffeffff, s61                             // 000000007894: 863D3DFF FFFEFFFF
	v_cndmask_b32_e64 v69, v69, v178, s[60:61]                 // 00000000789C: D1000045 00F36545
	s_lshl_b32 s60, s60, 1                                     // 0000000078A4: 8E3C813C
	s_lshl_b32 s61, s61, 1                                     // 0000000078A8: 8E3D813D
	s_and_b32 s60, 0xfffeffff, s60                             // 0000000078AC: 863C3CFF FFFEFFFF
	s_and_b32 s61, 0xfffeffff, s61                             // 0000000078B4: 863D3DFF FFFEFFFF
	v_cndmask_b32_e64 v70, v70, v178, s[60:61]                 // 0000000078BC: D1000046 00F36546
	s_lshl_b32 s60, s60, 1                                     // 0000000078C4: 8E3C813C
	s_lshl_b32 s61, s61, 1                                     // 0000000078C8: 8E3D813D
	s_and_b32 s60, 0xfffeffff, s60                             // 0000000078CC: 863C3CFF FFFEFFFF
	s_and_b32 s61, 0xfffeffff, s61                             // 0000000078D4: 863D3DFF FFFEFFFF
	v_cndmask_b32_e64 v71, v71, v178, s[60:61]                 // 0000000078DC: D1000047 00F36547
	s_branch label_0E5A                                        // 0000000078E4: BF820020

00000000000078e8 <label_0E3A>:
	v_mov_b32_e32 v68, v178                                    // 0000000078E8: 7E8803B2
	v_mov_b32_e32 v69, v178                                    // 0000000078EC: 7E8A03B2
	v_mov_b32_e32 v70, v178                                    // 0000000078F0: 7E8C03B2
	v_mov_b32_e32 v71, v178                                    // 0000000078F4: 7E8E03B2
	s_branch label_0E5A                                        // 0000000078F8: BF82001B

00000000000078fc <label_0E3F>:
	v_cndmask_b32_e64 v72, v72, v178, s[60:61]                 // 0000000078FC: D1000048 00F36548
	s_lshl_b32 s60, s60, 1                                     // 000000007904: 8E3C813C
	s_lshl_b32 s61, s61, 1                                     // 000000007908: 8E3D813D
	s_and_b32 s60, 0xfffeffff, s60                             // 00000000790C: 863C3CFF FFFEFFFF
	s_and_b32 s61, 0xfffeffff, s61                             // 000000007914: 863D3DFF FFFEFFFF
	v_cndmask_b32_e64 v73, v73, v178, s[60:61]                 // 00000000791C: D1000049 00F36549
	s_lshl_b32 s60, s60, 1                                     // 000000007924: 8E3C813C
	s_lshl_b32 s61, s61, 1                                     // 000000007928: 8E3D813D
	s_and_b32 s60, 0xfffeffff, s60                             // 00000000792C: 863C3CFF FFFEFFFF
	s_and_b32 s61, 0xfffeffff, s61                             // 000000007934: 863D3DFF FFFEFFFF
	v_cndmask_b32_e64 v74, v74, v178, s[60:61]                 // 00000000793C: D100004A 00F3654A
	s_lshl_b32 s60, s60, 1                                     // 000000007944: 8E3C813C
	s_lshl_b32 s61, s61, 1                                     // 000000007948: 8E3D813D
	s_and_b32 s60, 0xfffeffff, s60                             // 00000000794C: 863C3CFF FFFEFFFF
	s_and_b32 s61, 0xfffeffff, s61                             // 000000007954: 863D3DFF FFFEFFFF
	v_cndmask_b32_e64 v75, v75, v178, s[60:61]                 // 00000000795C: D100004B 00F3654B
	s_branch label_0E5F                                        // 000000007964: BF820005

0000000000007968 <label_0E5A>:
	v_mov_b32_e32 v72, v178                                    // 000000007968: 7E9003B2
	v_mov_b32_e32 v73, v178                                    // 00000000796C: 7E9203B2
	v_mov_b32_e32 v74, v178                                    // 000000007970: 7E9403B2
	v_mov_b32_e32 v75, v178                                    // 000000007974: 7E9603B2
	s_branch label_0E5F                                        // 000000007978: BF820000

000000000000797c <label_0E5F>:
	s_addk_i32 s74, 0x1                                        // 00000000797C: B74A0001
	s_waitcnt lgkmcnt(8)                                       // 000000007980: BF8CC87F
	s_barrier                                                  // 000000007984: BF8A0000
	v_mfma_f32_16x16x16_f16 v[76:79], v[108:109], a[72:73], 0  // 000000007988: D3CD004C 1202916C
	v_fma_f32 v52, v52, s57, -v140                             // 000000007990: D1CB0034 86307334
	v_fma_f32 v53, v53, s57, -v141                             // 000000007998: D1CB0035 86347335
	v_fma_f32 v54, v54, s57, -v142                             // 0000000079A0: D1CB0036 86387336
	v_fma_f32 v55, v55, s57, -v143                             // 0000000079A8: D1CB0037 863C7337
	v_fma_f32 v56, v56, s57, -v140                             // 0000000079B0: D1CB0038 86307338
	v_fma_f32 v57, v57, s57, -v141                             // 0000000079B8: D1CB0039 86347339
	v_mfma_f32_16x16x16_f16 v[76:79], v[110:111], a[74:75], v[76:79]// 0000000079C0: D3CD004C 1532956E
	ds_read_b128 a[96:99], v14 offset:4352                     // 0000000079C8: DBFE1100 6000000E
	ds_read_b128 a[100:103], v14 offset:4864                   // 0000000079D0: DBFE1300 6400000E
	v_mfma_f32_16x16x16_f16 v[76:79], v[112:113], a[76:77], v[76:79]// 0000000079D8: D3CD004C 15329970
	v_fma_f32 v58, v58, s57, -v142                             // 0000000079E0: D1CB003A 8638733A
	v_fma_f32 v59, v59, s57, -v143                             // 0000000079E8: D1CB003B 863C733B
	v_fma_f32 v60, v60, s57, -v140                             // 0000000079F0: D1CB003C 8630733C
	v_fma_f32 v61, v61, s57, -v141                             // 0000000079F8: D1CB003D 8634733D
	v_fma_f32 v62, v62, s57, -v142                             // 000000007A00: D1CB003E 8638733E
	v_fma_f32 v63, v63, s57, -v143                             // 000000007A08: D1CB003F 863C733F
	v_mfma_f32_16x16x16_f16 v[76:79], v[114:115], a[78:79], v[76:79]// 000000007A10: D3CD004C 15329D72
	v_fma_f32 v64, v64, s57, -v144                             // 000000007A18: D1CB0040 86407340
	v_fma_f32 v65, v65, s57, -v145                             // 000000007A20: D1CB0041 86447341
	v_fma_f32 v66, v66, s57, -v146                             // 000000007A28: D1CB0042 86487342
	v_fma_f32 v67, v67, s57, -v147                             // 000000007A30: D1CB0043 864C7343
	v_fma_f32 v68, v68, s57, -v144                             // 000000007A38: D1CB0044 86407344
	v_fma_f32 v69, v69, s57, -v145                             // 000000007A40: D1CB0045 86447345
	v_mfma_f32_16x16x16_f16 v[80:83], v[108:109], a[80:81], 0  // 000000007A48: D3CD0050 1202A16C
	v_fma_f32 v70, v70, s57, -v146                             // 000000007A50: D1CB0046 86487346
	v_fma_f32 v71, v71, s57, -v147                             // 000000007A58: D1CB0047 864C7347
	v_fma_f32 v72, v72, s57, -v144                             // 000000007A60: D1CB0048 86407348
	v_fma_f32 v73, v73, s57, -v145                             // 000000007A68: D1CB0049 86447349
	v_fma_f32 v74, v74, s57, -v146                             // 000000007A70: D1CB004A 8648734A
	v_fma_f32 v75, v75, s57, -v147                             // 000000007A78: D1CB004B 864C734B
	v_mfma_f32_16x16x16_f16 v[80:83], v[110:111], a[82:83], v[80:83]// 000000007A80: D3CD0050 1542A56E
	ds_read_b128 a[104:107], v14 offset:6528                   // 000000007A88: DBFE1980 6800000E
	ds_read_b128 a[108:111], v14 offset:7040                   // 000000007A90: DBFE1B80 6C00000E
	v_mfma_f32_16x16x16_f16 v[80:83], v[112:113], a[84:85], v[80:83]// 000000007A98: D3CD0050 1542A970
	v_exp_f32_e32 v52, v52                                     // 000000007AA0: 7E684134
	v_exp_f32_e32 v53, v53                                     // 000000007AA4: 7E6A4135
	v_mfma_f32_16x16x16_f16 v[80:83], v[114:115], a[86:87], v[80:83]// 000000007AA8: D3CD0050 1542AD72
	v_exp_f32_e32 v54, v54                                     // 000000007AB0: 7E6C4136
	v_exp_f32_e32 v55, v55                                     // 000000007AB4: 7E6E4137
	v_mfma_f32_16x16x16_f16 v[84:87], v[108:109], a[88:89], 0  // 000000007AB8: D3CD0054 1202B16C
	v_exp_f32_e32 v56, v56                                     // 000000007AC0: 7E704138
	v_exp_f32_e32 v57, v57                                     // 000000007AC4: 7E724139
	v_mfma_f32_16x16x16_f16 v[84:87], v[110:111], a[90:91], v[84:87]// 000000007AC8: D3CD0054 1552B56E
	ds_read_b32 v156, v21 offset:31232                         // 000000007AD0: D86C7A00 9C000015
	ds_read_b32 v157, v21 offset:31248                         // 000000007AD8: D86C7A10 9D000015
	v_mfma_f32_16x16x16_f16 v[84:87], v[112:113], a[92:93], v[84:87]// 000000007AE0: D3CD0054 1552B970
	v_exp_f32_e32 v58, v58                                     // 000000007AE8: 7E74413A
	v_exp_f32_e32 v59, v59                                     // 000000007AEC: 7E76413B
	v_mfma_f32_16x16x16_f16 v[84:87], v[114:115], a[94:95], v[84:87]// 000000007AF0: D3CD0054 1552BD72
	ds_read_b32 v158, v21 offset:31264                         // 000000007AF8: D86C7A20 9E000015
	ds_read_b32 v159, v21 offset:31280                         // 000000007B00: D86C7A30 9F000015
	v_mfma_f32_16x16x16_f16 v[88:91], v[116:117], a[72:73], 0  // 000000007B08: D3CD0058 12029174
	v_exp_f32_e32 v60, v60                                     // 000000007B10: 7E78413C
	v_exp_f32_e32 v61, v61                                     // 000000007B14: 7E7A413D
	v_mfma_f32_16x16x16_f16 v[88:91], v[118:119], a[74:75], v[88:91]// 000000007B18: D3CD0058 15629576
	v_exp_f32_e32 v62, v62                                     // 000000007B20: 7E7C413E
	v_exp_f32_e32 v63, v63                                     // 000000007B24: 7E7E413F
	v_mfma_f32_16x16x16_f16 v[88:91], v[120:121], a[76:77], v[88:91]// 000000007B28: D3CD0058 15629978
	v_exp_f32_e32 v64, v64                                     // 000000007B30: 7E804140
	v_exp_f32_e32 v65, v65                                     // 000000007B34: 7E824141
	v_mfma_f32_16x16x16_f16 v[88:91], v[122:123], a[78:79], v[88:91]// 000000007B38: D3CD0058 15629D7A
	v_exp_f32_e32 v66, v66                                     // 000000007B40: 7E844142
	v_exp_f32_e32 v67, v67                                     // 000000007B44: 7E864143
	v_mfma_f32_16x16x16_f16 v[92:95], v[116:117], a[80:81], 0  // 000000007B48: D3CD005C 1202A174
	v_exp_f32_e32 v68, v68                                     // 000000007B50: 7E884144
	v_exp_f32_e32 v69, v69                                     // 000000007B54: 7E8A4145
	v_mfma_f32_16x16x16_f16 v[92:95], v[118:119], a[82:83], v[92:95]// 000000007B58: D3CD005C 1572A576
	v_exp_f32_e32 v70, v70                                     // 000000007B60: 7E8C4146
	v_exp_f32_e32 v71, v71                                     // 000000007B64: 7E8E4147
	v_mfma_f32_16x16x16_f16 v[92:95], v[120:121], a[84:85], v[92:95]// 000000007B68: D3CD005C 1572A978
	v_exp_f32_e32 v72, v72                                     // 000000007B70: 7E904148
	v_exp_f32_e32 v73, v73                                     // 000000007B74: 7E924149
	v_mfma_f32_16x16x16_f16 v[92:95], v[122:123], a[86:87], v[92:95]// 000000007B78: D3CD005C 1572AD7A
	v_exp_f32_e32 v74, v74                                     // 000000007B80: 7E94414A
	v_exp_f32_e32 v75, v75                                     // 000000007B84: 7E96414B
	v_mfma_f32_16x16x16_f16 v[96:99], v[116:117], a[88:89], 0  // 000000007B88: D3CD0060 1202B174
	v_cvt_pkrtz_f16_f32 v164, v52, v53                         // 000000007B90: D29600A4 00026B34
	v_cvt_pkrtz_f16_f32 v165, v54, v55                         // 000000007B98: D29600A5 00026F36
	v_cvt_pkrtz_f16_f32 v166, v56, v57                         // 000000007BA0: D29600A6 00027338
	v_cvt_pkrtz_f16_f32 v167, v58, v59                         // 000000007BA8: D29600A7 0002773A
	v_cvt_pkrtz_f16_f32 v168, v60, v61                         // 000000007BB0: D29600A8 00027B3C
	v_cvt_pkrtz_f16_f32 v169, v62, v63                         // 000000007BB8: D29600A9 00027F3E
	v_mfma_f32_16x16x16_f16 v[96:99], v[118:119], a[90:91], v[96:99]// 000000007BC0: D3CD0060 1582B576
	v_cvt_pkrtz_f16_f32 v170, v64, v65                         // 000000007BC8: D29600AA 00028340
	v_cvt_pkrtz_f16_f32 v171, v66, v67                         // 000000007BD0: D29600AB 00028742
	v_cvt_pkrtz_f16_f32 v172, v68, v69                         // 000000007BD8: D29600AC 00028B44
	v_cvt_pkrtz_f16_f32 v173, v70, v71                         // 000000007BE0: D29600AD 00028F46
	v_cvt_pkrtz_f16_f32 v174, v72, v73                         // 000000007BE8: D29600AE 00029348
	v_cvt_pkrtz_f16_f32 v175, v74, v75                         // 000000007BF0: D29600AF 0002974A
	v_mfma_f32_16x16x16_f16 v[96:99], v[120:121], a[92:93], v[96:99]// 000000007BF8: D3CD0060 1582B978
	s_add_u32 s32, s66, s32                                    // 000000007C00: 80202042
	s_addc_u32 s33, 0, s33                                     // 000000007C04: 82212180
	v_mfma_f32_16x16x16_f16 v[96:99], v[122:123], a[94:95], v[96:99]// 000000007C08: D3CD0060 1582BD7A
	s_waitcnt lgkmcnt(0)                                       // 000000007C10: BF8CC07F
	s_barrier                                                  // 000000007C14: BF8A0000
	v_mfma_f32_16x16x16_f16 v[180:183], v[124:125], v[164:165], v[180:183]// 000000007C18: D3CD00B4 06D3497C
	v_subrev_f32_dpp v76, v176, v76 quad_perm:[0,0,0,0] row_mask:0xf bank_mask:0xf// 000000007C20: 069898FA FF0000B0
	v_subrev_f32_dpp v77, v176, v77 quad_perm:[1,1,1,1] row_mask:0xf bank_mask:0xf// 000000007C28: 069A9AFA FF0055B0
	v_subrev_f32_dpp v78, v176, v78 quad_perm:[2,2,2,2] row_mask:0xf bank_mask:0xf// 000000007C30: 069C9CFA FF00AAB0
	v_subrev_f32_dpp v79, v176, v79 quad_perm:[3,3,3,3] row_mask:0xf bank_mask:0xf// 000000007C38: 069E9EFA FF00FFB0
	v_subrev_f32_dpp v80, v176, v80 quad_perm:[0,0,0,0] row_mask:0xf bank_mask:0xf// 000000007C40: 06A0A0FA FF0000B0
	v_subrev_f32_dpp v81, v176, v81 quad_perm:[1,1,1,1] row_mask:0xf bank_mask:0xf// 000000007C48: 06A2A2FA FF0055B0
	v_mfma_f32_16x16x16_f16 v[184:187], v[126:127], v[164:165], v[184:187]// 000000007C50: D3CD00B8 06E3497E
	v_subrev_f32_dpp v82, v176, v82 quad_perm:[2,2,2,2] row_mask:0xf bank_mask:0xf// 000000007C58: 06A4A4FA FF00AAB0
	v_subrev_f32_dpp v83, v176, v83 quad_perm:[3,3,3,3] row_mask:0xf bank_mask:0xf// 000000007C60: 06A6A6FA FF00FFB0
	v_subrev_f32_dpp v84, v176, v84 quad_perm:[0,0,0,0] row_mask:0xf bank_mask:0xf// 000000007C68: 06A8A8FA FF0000B0
	v_subrev_f32_dpp v85, v176, v85 quad_perm:[1,1,1,1] row_mask:0xf bank_mask:0xf// 000000007C70: 06AAAAFA FF0055B0
	v_subrev_f32_dpp v86, v176, v86 quad_perm:[2,2,2,2] row_mask:0xf bank_mask:0xf// 000000007C78: 06ACACFA FF00AAB0
	v_subrev_f32_dpp v87, v176, v87 quad_perm:[3,3,3,3] row_mask:0xf bank_mask:0xf// 000000007C80: 06AEAEFA FF00FFB0
	v_mfma_f32_16x16x16_f16 v[188:191], v[128:129], v[164:165], v[188:191]// 000000007C88: D3CD00BC 06F34980
	v_mul_f32_e32 v76, v52, v76                                // 000000007C90: 0A989934
	v_mul_f32_e32 v77, v53, v77                                // 000000007C94: 0A9A9B35
	v_mul_f32_e32 v78, v54, v78                                // 000000007C98: 0A9C9D36
	v_mul_f32_e32 v79, v55, v79                                // 000000007C9C: 0A9E9F37
	v_mul_f32_e32 v80, v56, v80                                // 000000007CA0: 0AA0A138
	v_mul_f32_e32 v81, v57, v81                                // 000000007CA4: 0AA2A339
	v_mfma_f32_16x16x16_f16 v[192:195], v[130:131], v[164:165], v[192:195]// 000000007CA8: D3CD00C0 07034982
	v_mul_f32_e32 v82, v58, v82                                // 000000007CB0: 0AA4A53A
	v_mul_f32_e32 v83, v59, v83                                // 000000007CB4: 0AA6A73B
	v_mul_f32_e32 v84, v60, v84                                // 000000007CB8: 0AA8A93C
	v_mul_f32_e32 v85, v61, v85                                // 000000007CBC: 0AAAAB3D
	v_mul_f32_e32 v86, v62, v86                                // 000000007CC0: 0AACAD3E
	v_mul_f32_e32 v87, v63, v87                                // 000000007CC4: 0AAEAF3F
	v_mfma_f32_16x16x16_f16 v[196:199], v[124:125], v[166:167], v[196:199]// 000000007CC8: D3CD00C4 07134D7C
	v_cvt_pkrtz_f16_f32 v76, v76, v77                          // 000000007CD0: D296004C 00029B4C
	v_cvt_pkrtz_f16_f32 v77, v78, v79                          // 000000007CD8: D296004D 00029F4E
	v_cvt_pkrtz_f16_f32 v78, v80, v81                          // 000000007CE0: D296004E 0002A350
	v_cvt_pkrtz_f16_f32 v79, v82, v83                          // 000000007CE8: D296004F 0002A752
	v_cvt_pkrtz_f16_f32 v80, v84, v85                          // 000000007CF0: D2960050 0002AB54
	v_cvt_pkrtz_f16_f32 v81, v86, v87                          // 000000007CF8: D2960051 0002AF56
	v_mfma_f32_16x16x16_f16 v[200:203], v[126:127], v[166:167], v[200:203]// 000000007D00: D3CD00C8 07234D7E
	v_mov_b32_dpp v18, v76 quad_perm:[1,0,3,2] row_mask:0xf bank_mask:0xf// 000000007D08: 7E2402FA FF00B14C
	v_perm_b32 v52, v18, v76, v17                              // 000000007D10: D1ED0034 04469912
	v_mov_b32_dpp v18, v77 quad_perm:[1,0,3,2] row_mask:0xf bank_mask:0xf// 000000007D18: 7E2402FA FF00B14D
	v_perm_b32 v53, v18, v77, v17                              // 000000007D20: D1ED0035 04469B12
	v_mov_b32_dpp v18, v78 quad_perm:[1,0,3,2] row_mask:0xf bank_mask:0xf// 000000007D28: 7E2402FA FF00B14E
	v_perm_b32 v54, v18, v78, v17                              // 000000007D30: D1ED0036 04469D12
	v_mfma_f32_16x16x16_f16 v[204:207], v[128:129], v[166:167], v[204:207]// 000000007D38: D3CD00CC 07334D80
	ds_write_b32 v20, v52 offset:17408                         // 000000007D40: D81A4400 00003414
	ds_write_b32 v20, v53 offset:17952                         // 000000007D48: D81A4620 00003514
	v_mfma_f32_16x16x16_f16 v[208:211], v[130:131], v[166:167], v[208:211]// 000000007D50: D3CD00D0 07434D82
	v_mov_b32_dpp v18, v79 quad_perm:[1,0,3,2] row_mask:0xf bank_mask:0xf// 000000007D58: 7E2402FA FF00B14F
	v_perm_b32 v55, v18, v79, v17                              // 000000007D60: D1ED0037 04469F12
	v_mov_b32_dpp v18, v80 quad_perm:[1,0,3,2] row_mask:0xf bank_mask:0xf// 000000007D68: 7E2402FA FF00B150
	v_perm_b32 v56, v18, v80, v17                              // 000000007D70: D1ED0038 0446A112
	v_mov_b32_dpp v18, v81 quad_perm:[1,0,3,2] row_mask:0xf bank_mask:0xf// 000000007D78: 7E2402FA FF00B151
	v_perm_b32 v57, v18, v81, v17                              // 000000007D80: D1ED0039 0446A312
	v_mfma_f32_16x16x16_f16 v[212:215], v[124:125], v[168:169], v[212:215]// 000000007D88: D3CD00D4 0753517C
	ds_write_b32 v20, v54 offset:19712                         // 000000007D90: D81A4D00 00003614
	ds_write_b32 v20, v55 offset:20256                         // 000000007D98: D81A4F20 00003714
	v_mfma_f32_16x16x16_f16 v[216:219], v[126:127], v[168:169], v[216:219]// 000000007DA0: D3CD00D8 0763517E
	v_subrev_f32_dpp v88, v177, v88 quad_perm:[0,0,0,0] row_mask:0xf bank_mask:0xf// 000000007DA8: 06B0B0FA FF0000B1
	v_subrev_f32_dpp v89, v177, v89 quad_perm:[1,1,1,1] row_mask:0xf bank_mask:0xf// 000000007DB0: 06B2B2FA FF0055B1
	v_subrev_f32_dpp v90, v177, v90 quad_perm:[2,2,2,2] row_mask:0xf bank_mask:0xf// 000000007DB8: 06B4B4FA FF00AAB1
	v_subrev_f32_dpp v91, v177, v91 quad_perm:[3,3,3,3] row_mask:0xf bank_mask:0xf// 000000007DC0: 06B6B6FA FF00FFB1
	v_subrev_f32_dpp v92, v177, v92 quad_perm:[0,0,0,0] row_mask:0xf bank_mask:0xf// 000000007DC8: 06B8B8FA FF0000B1
	v_subrev_f32_dpp v93, v177, v93 quad_perm:[1,1,1,1] row_mask:0xf bank_mask:0xf// 000000007DD0: 06BABAFA FF0055B1
	v_mfma_f32_16x16x16_f16 v[220:223], v[128:129], v[168:169], v[220:223]// 000000007DD8: D3CD00DC 07735180
	ds_write_b32 v20, v56 offset:22016                         // 000000007DE0: D81A5600 00003814
	ds_write_b32 v20, v57 offset:22560                         // 000000007DE8: D81A5820 00003914
	v_mfma_f32_16x16x16_f16 v[224:227], v[130:131], v[168:169], v[224:227]// 000000007DF0: D3CD00E0 07835182
	v_subrev_f32_dpp v94, v177, v94 quad_perm:[2,2,2,2] row_mask:0xf bank_mask:0xf// 000000007DF8: 06BCBCFA FF00AAB1
	v_subrev_f32_dpp v95, v177, v95 quad_perm:[3,3,3,3] row_mask:0xf bank_mask:0xf// 000000007E00: 06BEBEFA FF00FFB1
	v_subrev_f32_dpp v96, v177, v96 quad_perm:[0,0,0,0] row_mask:0xf bank_mask:0xf// 000000007E08: 06C0C0FA FF0000B1
	v_subrev_f32_dpp v97, v177, v97 quad_perm:[1,1,1,1] row_mask:0xf bank_mask:0xf// 000000007E10: 06C2C2FA FF0055B1
	v_subrev_f32_dpp v98, v177, v98 quad_perm:[2,2,2,2] row_mask:0xf bank_mask:0xf// 000000007E18: 06C4C4FA FF00AAB1
	v_subrev_f32_dpp v99, v177, v99 quad_perm:[3,3,3,3] row_mask:0xf bank_mask:0xf// 000000007E20: 06C6C6FA FF00FFB1
	v_mfma_f32_16x16x16_f16 v[180:183], v[132:133], v[170:171], v[180:183]// 000000007E28: D3CD00B4 06D35584
	v_mul_f32_e32 v88, v64, v88                                // 000000007E30: 0AB0B140
	v_mul_f32_e32 v89, v65, v89                                // 000000007E34: 0AB2B341
	v_mul_f32_e32 v90, v66, v90                                // 000000007E38: 0AB4B542
	v_mul_f32_e32 v91, v67, v91                                // 000000007E3C: 0AB6B743
	v_mul_f32_e32 v92, v68, v92                                // 000000007E40: 0AB8B944
	v_mul_f32_e32 v93, v69, v93                                // 000000007E44: 0ABABB45
	v_mfma_f32_16x16x16_f16 v[184:187], v[134:135], v[170:171], v[184:187]// 000000007E48: D3CD00B8 06E35586
	v_mul_f32_e32 v94, v70, v94                                // 000000007E50: 0ABCBD46
	v_mul_f32_e32 v95, v71, v95                                // 000000007E54: 0ABEBF47
	v_mul_f32_e32 v96, v72, v96                                // 000000007E58: 0AC0C148
	v_mul_f32_e32 v97, v73, v97                                // 000000007E5C: 0AC2C349
	v_mul_f32_e32 v98, v74, v98                                // 000000007E60: 0AC4C54A
	v_mul_f32_e32 v99, v75, v99                                // 000000007E64: 0AC6C74B
	v_mfma_f32_16x16x16_f16 v[188:191], v[136:137], v[170:171], v[188:191]// 000000007E68: D3CD00BC 06F35588
	v_cvt_pkrtz_f16_f32 v82, v88, v89                          // 000000007E70: D2960052 0002B358
	v_cvt_pkrtz_f16_f32 v83, v90, v91                          // 000000007E78: D2960053 0002B75A
	v_cvt_pkrtz_f16_f32 v84, v92, v93                          // 000000007E80: D2960054 0002BB5C
	v_cvt_pkrtz_f16_f32 v85, v94, v95                          // 000000007E88: D2960055 0002BF5E
	v_cvt_pkrtz_f16_f32 v86, v96, v97                          // 000000007E90: D2960056 0002C360
	v_cvt_pkrtz_f16_f32 v87, v98, v99                          // 000000007E98: D2960057 0002C762
	v_mfma_f32_16x16x16_f16 v[192:195], v[138:139], v[170:171], v[192:195]// 000000007EA0: D3CD00C0 0703558A
	v_mov_b32_dpp v18, v82 quad_perm:[1,0,3,2] row_mask:0xf bank_mask:0xf// 000000007EA8: 7E2402FA FF00B152
	v_perm_b32 v58, v18, v82, v17                              // 000000007EB0: D1ED003A 0446A512
	v_mov_b32_dpp v18, v83 quad_perm:[1,0,3,2] row_mask:0xf bank_mask:0xf// 000000007EB8: 7E2402FA FF00B153
	v_perm_b32 v59, v18, v83, v17                              // 000000007EC0: D1ED003B 0446A712
	v_mov_b32_dpp v18, v84 quad_perm:[1,0,3,2] row_mask:0xf bank_mask:0xf// 000000007EC8: 7E2402FA FF00B154
	v_perm_b32 v60, v18, v84, v17                              // 000000007ED0: D1ED003C 0446A912
	v_mfma_f32_16x16x16_f16 v[196:199], v[132:133], v[172:173], v[196:199]// 000000007ED8: D3CD00C4 07135984
	ds_write_b32 v20, v58 offset:24320                         // 000000007EE0: D81A5F00 00003A14
	ds_write_b32 v20, v59 offset:24864                         // 000000007EE8: D81A6120 00003B14
	v_mfma_f32_16x16x16_f16 v[200:203], v[134:135], v[172:173], v[200:203]// 000000007EF0: D3CD00C8 07235986
	v_mov_b32_dpp v18, v85 quad_perm:[1,0,3,2] row_mask:0xf bank_mask:0xf// 000000007EF8: 7E2402FA FF00B155
	v_perm_b32 v61, v18, v85, v17                              // 000000007F00: D1ED003D 0446AB12
	v_mov_b32_dpp v18, v86 quad_perm:[1,0,3,2] row_mask:0xf bank_mask:0xf// 000000007F08: 7E2402FA FF00B156
	v_perm_b32 v62, v18, v86, v17                              // 000000007F10: D1ED003E 0446AD12
	v_mov_b32_dpp v18, v87 quad_perm:[1,0,3,2] row_mask:0xf bank_mask:0xf// 000000007F18: 7E2402FA FF00B157
	v_perm_b32 v63, v18, v87, v17                              // 000000007F20: D1ED003F 0446AF12
	v_mfma_f32_16x16x16_f16 v[204:207], v[136:137], v[172:173], v[204:207]// 000000007F28: D3CD00CC 07335988
	ds_write_b32 v20, v60 offset:26624                         // 000000007F30: D81A6800 00003C14
	ds_write_b32 v20, v61 offset:27168                         // 000000007F38: D81A6A20 00003D14
	ds_write_b32 v20, v62 offset:28928                         // 000000007F40: D81A7100 00003E14
	ds_write_b32 v20, v63 offset:29472                         // 000000007F48: D81A7320 00003F14
	v_mfma_f32_16x16x16_f16 v[208:211], v[138:139], v[172:173], v[208:211]// 000000007F50: D3CD00D0 0743598A
	v_mfma_f32_16x16x16_f16 v[212:215], v[132:133], v[174:175], v[212:215]// 000000007F58: D3CD00D4 07535D84
	ds_write_b32 v15, v100 offset:4352                         // 000000007F60: D81A1100 0000640F
	ds_write_b32 v15, v101 offset:5408                         // 000000007F68: D81A1520 0000650F
	v_mfma_f32_16x16x16_f16 v[216:219], v[134:135], v[174:175], v[216:219]// 000000007F70: D3CD00D8 07635D86
	v_mfma_f32_16x16x16_f16 v[220:223], v[136:137], v[174:175], v[220:223]// 000000007F78: D3CD00DC 07735D88
	ds_write_b32 v15, v102 offset:6528                         // 000000007F80: D81A1980 0000660F
	ds_write_b32 v15, v103 offset:7584                         // 000000007F88: D81A1DA0 0000670F
	v_mfma_f32_16x16x16_f16 v[224:227], v[138:139], v[174:175], v[224:227]// 000000007F90: D3CD00E0 07835D8A
	s_nop 0                                                    // 000000007F98: BF800000
	s_nop 0                                                    // 000000007F9C: BF800000
	s_nop 0                                                    // 000000007FA0: BF800000
	s_barrier                                                  // 000000007FA4: BF8A0000
	v_mfma_f32_16x16x16_f16 a[112:115], a[96:97], v[76:77], a[112:115]// 000000007FA8: D3CD8070 0DC29960
	ds_read_b32 v140, v23 offset:36096                         // 000000007FB0: D86C8D00 8C000017
	ds_read_b32 v144, v23 offset:36160                         // 000000007FB8: D86C8D40 90000017
	ds_read_b32 v176, v23 offset:36352                         // 000000007FC0: D86C8E00 B0000017
	ds_read_b32 v177, v23 offset:36416                         // 000000007FC8: D86C8E40 B1000017
	v_mfma_f32_16x16x16_f16 a[116:119], a[98:99], v[76:77], a[116:119]// 000000007FD0: D3CD8074 0DD29962
	buffer_atomic_pk_add_f16 v156, v7, s[32:35], 0 idxen       // 000000007FD8: E1382000 80089C07
	v_mfma_f32_16x16x16_f16 a[120:123], a[100:101], v[76:77], a[120:123]// 000000007FE0: D3CD8078 0DE29964
	s_waitcnt lgkmcnt(8)                                       // 000000007FE8: BF8CC87F
	s_barrier                                                  // 000000007FEC: BF8A0000
	v_mfma_f32_16x16x16_f16 a[124:127], a[102:103], v[76:77], a[124:127]// 000000007FF0: D3CD807C 0DF29966
	v_mfma_f32_16x16x16_f16 a[128:131], a[96:97], v[78:79], a[128:131]// 000000007FF8: D3CD8080 0E029D60
	ds_read_b128 v[52:55], v19 offset:17408                    // 000000008000: D9FE4400 34000013
	v_mfma_f32_16x16x16_f16 a[132:135], a[98:99], v[78:79], a[132:135]// 000000008008: D3CD8084 0E129D62
	v_mfma_f32_16x16x16_f16 a[136:139], a[100:101], v[78:79], a[136:139]// 000000008010: D3CD8088 0E229D64
	ds_read_b128 v[56:59], v19 offset:18560                    // 000000008018: D9FE4880 38000013
	v_mfma_f32_16x16x16_f16 a[140:143], a[102:103], v[78:79], a[140:143]// 000000008020: D3CD808C 0E329D66
	buffer_atomic_pk_add_f16 v157, v8, s[32:35], 0 idxen       // 000000008028: E1382000 80089D08
	v_mfma_f32_16x16x16_f16 a[144:147], a[96:97], v[80:81], a[144:147]// 000000008030: D3CD8090 0E42A160
	ds_read_b128 v[60:63], v19 offset:19712                    // 000000008038: D9FE4D00 3C000013
	v_mfma_f32_16x16x16_f16 a[148:151], a[98:99], v[80:81], a[148:151]// 000000008040: D3CD8094 0E52A162
	v_mfma_f32_16x16x16_f16 a[152:155], a[100:101], v[80:81], a[152:155]// 000000008048: D3CD8098 0E62A164
	ds_read_b128 v[64:67], v19 offset:20864                    // 000000008050: D9FE5180 40000013
	v_mfma_f32_16x16x16_f16 a[156:159], a[102:103], v[80:81], a[156:159]// 000000008058: D3CD809C 0E72A166
	v_mfma_f32_16x16x16_f16 a[112:115], a[104:105], v[82:83], a[112:115]// 000000008060: D3CD8070 0DC2A568
	ds_read_b128 v[68:71], v19 offset:22016                    // 000000008068: D9FE5600 44000013
	v_mfma_f32_16x16x16_f16 a[116:119], a[106:107], v[82:83], a[116:119]// 000000008070: D3CD8074 0DD2A56A
	buffer_atomic_pk_add_f16 v158, v9, s[32:35], 0 idxen       // 000000008078: E1382000 80089E09
	v_mfma_f32_16x16x16_f16 a[120:123], a[108:109], v[82:83], a[120:123]// 000000008080: D3CD8078 0DE2A56C
	ds_read_b128 v[72:75], v19 offset:23168                    // 000000008088: D9FE5A80 48000013
	v_mfma_f32_16x16x16_f16 a[124:127], a[110:111], v[82:83], a[124:127]// 000000008090: D3CD807C 0DF2A56E
	v_mfma_f32_16x16x16_f16 a[128:131], a[104:105], v[84:85], a[128:131]// 000000008098: D3CD8080 0E02A968
	ds_write_b32 v15, v104 offset:13056                        // 0000000080A0: D81A3300 0000680F
	v_mfma_f32_16x16x16_f16 a[132:135], a[106:107], v[84:85], a[132:135]// 0000000080A8: D3CD8084 0E12A96A
	v_mfma_f32_16x16x16_f16 a[136:139], a[108:109], v[84:85], a[136:139]// 0000000080B0: D3CD8088 0E22A96C
	ds_write_b32 v15, v105 offset:14112                        // 0000000080B8: D81A3720 0000690F
	v_mfma_f32_16x16x16_f16 a[140:143], a[110:111], v[84:85], a[140:143]// 0000000080C0: D3CD808C 0E32A96E
	buffer_atomic_pk_add_f16 v159, v10, s[32:35], 0 idxen      // 0000000080C8: E1382000 80089F0A
	v_mfma_f32_16x16x16_f16 a[144:147], a[104:105], v[86:87], a[144:147]// 0000000080D0: D3CD8090 0E42AD68
	ds_write_b32 v15, v106 offset:15232                        // 0000000080D8: D81A3B80 00006A0F
	v_mfma_f32_16x16x16_f16 a[148:151], a[106:107], v[86:87], a[148:151]// 0000000080E0: D3CD8094 0E52AD6A
	v_mfma_f32_16x16x16_f16 a[152:155], a[108:109], v[86:87], a[152:155]// 0000000080E8: D3CD8098 0E62AD6C
	ds_write_b32 v15, v107 offset:16288                        // 0000000080F0: D81A3FA0 00006B0F
	v_mfma_f32_16x16x16_f16 a[156:159], a[110:111], v[86:87], a[156:159]// 0000000080F8: D3CD809C 0E72AD6E
	s_waitcnt vmcnt(4) lgkmcnt(4)                              // 000000008100: BF8C0474
	s_barrier                                                  // 000000008104: BF8A0000
	v_mfma_f32_16x16x16_f16 v[148:151], a[24:25], v[52:53], 0  // 000000008108: D3CD0094 0A026918
	ds_read_b128 a[96:99], v12                                 // 000000008110: DBFE0000 6000000C
	buffer_load_dword v40, v1, s[8:11], 0 idxen                // 000000008118: E0502000 80022801
	v_mfma_f32_16x16x16_f16 v[148:151], a[28:29], v[54:55], v[148:151]// 000000008120: D3CD0094 0E526D1C
	v_mul_f32_e32 v140, s49, v140                              // 000000008128: 0B191831
	v_mul_f32_e32 v144, s49, v144                              // 00000000812C: 0B212031
	s_nop 0                                                    // 000000008130: BF800000
	v_mfma_f32_16x16x16_f16 v[148:151], a[32:33], v[56:57], v[148:151]// 000000008134: D3CD0094 0E527120
	ds_read_b128 a[100:103], v12 offset:512                    // 00000000813C: DBFE0200 6400000C
	buffer_load_dword v41, v2, s[8:11], 0 idxen                // 000000008144: E0502000 80022902
	v_mfma_f32_16x16x16_f16 v[148:151], a[36:37], v[58:59], v[148:151]// 00000000814C: D3CD0094 0E527524
	v_mfma_f32_16x16x16_f16 v[148:151], a[40:41], v[60:61], v[148:151]// 000000008154: D3CD0094 0E527928
	ds_read_b128 a[104:107], v12 offset:2176                   // 00000000815C: DBFE0880 6800000C
	buffer_load_dword v42, v3, s[8:11], 0 idxen                // 000000008164: E0502000 80022A03
	v_mfma_f32_16x16x16_f16 v[148:151], a[44:45], v[62:63], v[148:151]// 00000000816C: D3CD0094 0E527D2C
	v_perm_b32 v100, v37, v36, s63                             // 000000008174: D1ED0064 00FE4925
	v_perm_b32 v101, v37, v36, s64                             // 00000000817C: D1ED0065 01024925
	v_mfma_f32_16x16x16_f16 v[148:151], a[48:49], v[64:65], v[148:151]// 000000008184: D3CD0094 0E528130
	ds_read_b128 a[108:111], v12 offset:2688                   // 00000000818C: DBFE0A80 6C00000C
	buffer_load_dword v43, v4, s[8:11], 0 idxen                // 000000008194: E0502000 80022B04
	v_mfma_f32_16x16x16_f16 v[148:151], a[52:53], v[66:67], v[148:151]// 00000000819C: D3CD0094 0E528534
	v_perm_b32 v102, v39, v38, s63                             // 0000000081A4: D1ED0066 00FE4D27
	v_perm_b32 v103, v39, v38, s64                             // 0000000081AC: D1ED0067 01024D27
	v_mfma_f32_16x16x16_f16 v[148:151], a[56:57], v[68:69], v[148:151]// 0000000081B4: D3CD0094 0E528938
	ds_read_b128 v[108:111], v12 offset:8704                   // 0000000081BC: D9FE2200 6C00000C
	buffer_load_dword v48, v1, s[20:23], 0 idxen               // 0000000081C4: E0502000 80053001
	v_mfma_f32_16x16x16_f16 v[148:151], a[60:61], v[70:71], v[148:151]// 0000000081CC: D3CD0094 0E528D3C
	v_perm_b32 v104, v45, v44, s63                             // 0000000081D4: D1ED0068 00FE592D
	v_perm_b32 v105, v45, v44, s64                             // 0000000081DC: D1ED0069 0102592D
	v_mfma_f32_16x16x16_f16 v[148:151], a[64:65], v[72:73], v[148:151]// 0000000081E4: D3CD0094 0E529140
	ds_read_b128 v[112:115], v12 offset:9216                   // 0000000081EC: D9FE2400 7000000C
	buffer_load_dword v49, v2, s[20:23], 0 idxen               // 0000000081F4: E0502000 80053102
	v_mfma_f32_16x16x16_f16 v[148:151], a[68:69], v[74:75], v[148:151]// 0000000081FC: D3CD0094 0E529544
	v_perm_b32 v106, v47, v46, s63                             // 000000008204: D1ED006A 00FE5D2F
	v_perm_b32 v107, v47, v46, s64                             // 00000000820C: D1ED006B 01025D2F
	v_mfma_f32_16x16x16_f16 v[152:155], a[26:27], v[52:53], 0  // 000000008214: D3CD0098 0A02691A
	ds_read_b128 v[116:119], v12 offset:10880                  // 00000000821C: D9FE2A80 7400000C
	buffer_load_dword v50, v3, s[20:23], 0 idxen               // 000000008224: E0502000 80053203
	v_mfma_f32_16x16x16_f16 v[152:155], a[30:31], v[54:55], v[152:155]// 00000000822C: D3CD0098 0E626D1E
	v_mov_b32_dpp v143, v140 quad_perm:[3,3,3,3] row_mask:0xf bank_mask:0xf// 000000008234: 7F1E02FA FF00FF8C
	v_mov_b32_dpp v142, v140 quad_perm:[2,2,2,2] row_mask:0xf bank_mask:0xf// 00000000823C: 7F1C02FA FF00AA8C
	v_mov_b32_dpp v141, v140 quad_perm:[1,1,1,1] row_mask:0xf bank_mask:0xf// 000000008244: 7F1A02FA FF00558C
	v_mov_b32_dpp v140, v140 quad_perm:[0,0,0,0] row_mask:0xf bank_mask:0xf// 00000000824C: 7F1802FA FF00008C
	v_mfma_f32_16x16x16_f16 v[152:155], a[34:35], v[56:57], v[152:155]// 000000008254: D3CD0098 0E627122
	ds_read_b128 v[120:123], v12 offset:11392                  // 00000000825C: D9FE2C80 7800000C
	buffer_load_dword v51, v4, s[20:23], 0 idxen               // 000000008264: E0502000 80053304
	v_mfma_f32_16x16x16_f16 v[152:155], a[38:39], v[58:59], v[152:155]// 00000000826C: D3CD0098 0E627526
	v_mov_b32_dpp v147, v144 quad_perm:[3,3,3,3] row_mask:0xf bank_mask:0xf// 000000008274: 7F2602FA FF00FF90
	v_mov_b32_dpp v146, v144 quad_perm:[2,2,2,2] row_mask:0xf bank_mask:0xf// 00000000827C: 7F2402FA FF00AA90
	v_mov_b32_dpp v145, v144 quad_perm:[1,1,1,1] row_mask:0xf bank_mask:0xf// 000000008284: 7F2202FA FF005590
	v_mov_b32_dpp v144, v144 quad_perm:[0,0,0,0] row_mask:0xf bank_mask:0xf// 00000000828C: 7F2002FA FF000090
	s_add_u32 s60, 0x80, s59                                   // 000000008294: 803C3BFF 00000080
	v_mfma_f32_16x16x16_f16 v[152:155], a[42:43], v[60:61], v[152:155]// 00000000829C: D3CD0098 0E62792A
	buffer_load_dword v11, s[24:27], 0 idxen lds               // 0000000082A4: E0512000 8006000B
	v_mfma_f32_16x16x16_f16 v[152:155], a[46:47], v[62:63], v[152:155]// 0000000082AC: D3CD0098 0E627D2E
	s_cmp_lt_u32 s60, s58                                      // 0000000082B4: BF0A3A3C
	s_cselect_b32 s68, s68, 0                                  // 0000000082B8: 85448044
	s_cselect_b32 s69, s69, 0                                  // 0000000082BC: 85458045
	v_mfma_f32_16x16x16_f16 v[152:155], a[50:51], v[64:65], v[152:155]// 0000000082C0: D3CD0098 0E628132
	s_add_u32 s8, s68, s8                                      // 0000000082C8: 80080844
	s_addc_u32 s9, 0, s9                                       // 0000000082CC: 82090980
	v_mfma_f32_16x16x16_f16 v[152:155], a[54:55], v[66:67], v[152:155]// 0000000082D0: D3CD0098 0E628536
	s_add_u32 s20, s68, s20                                    // 0000000082D8: 80141444
	s_addc_u32 s21, 0, s21                                     // 0000000082DC: 82151580
	v_mfma_f32_16x16x16_f16 v[152:155], a[58:59], v[68:69], v[152:155]// 0000000082E0: D3CD0098 0E62893A
	s_mov_b32 m0, s78                                          // 0000000082E8: BEFC004E
	v_add_u32_e32 v11, s69, v11                                // 0000000082EC: 68161645
	v_mfma_f32_16x16x16_f16 v[152:155], a[62:63], v[70:71], v[152:155]// 0000000082F0: D3CD0098 0E628D3E
	s_cmp_ge_u32 s59, s73                                      // 0000000082F8: BF09493B
	s_cselect_b32 s66, s67, s66                                // 0000000082FC: 85424243
	v_mfma_f32_16x16x16_f16 v[152:155], a[66:67], v[72:73], v[152:155]// 000000008300: D3CD0098 0E629142
	s_addk_i32 s59, 0x20                                       // 000000008308: B73B0020
	s_nop 0                                                    // 00000000830C: BF800000
	s_cmp_lt_i32 s59, s58                                      // 000000008310: BF043A3B
	v_mfma_f32_16x16x16_f16 v[152:155], a[70:71], v[74:75], v[152:155]// 000000008314: D3CD0098 0E629546
	s_cbranch_scc0 label_0D16                                  // 00000000831C: BF84FC4E
	s_waitcnt lgkmcnt(4)                                       // 000000008320: BF8CC47F
	s_barrier                                                  // 000000008324: BF8A0000
	v_mfma_f32_16x16x16_f16 v[52:55], a[96:97], a[0:1], 0      // 000000008328: D3CD0034 1A020160
	v_mul_f32_e32 v148, s48, v148                              // 000000008330: 0B292830
	v_mul_f32_e32 v149, s48, v149                              // 000000008334: 0B2B2A30
	v_mfma_f32_16x16x16_f16 v[52:55], a[98:99], a[2:3], v[52:55]// 000000008338: D3CD0034 1CD20562
	ds_write_b32 v13, v44 offset:8704                          // 000000008340: D81A2200 00002C0D
	ds_write_b32 v13, v45 offset:9760                          // 000000008348: D81A2620 00002D0D
	v_mfma_f32_16x16x16_f16 v[52:55], a[100:101], a[4:5], v[52:55]// 000000008350: D3CD0034 1CD20964
	v_mul_f32_e32 v150, s48, v150                              // 000000008358: 0B2D2C30
	v_mul_f32_e32 v151, s48, v151                              // 00000000835C: 0B2F2E30
	v_mfma_f32_16x16x16_f16 v[52:55], a[102:103], a[6:7], v[52:55]// 000000008360: D3CD0034 1CD20D66
	ds_write_b32 v13, v46 offset:10880                         // 000000008368: D81A2A80 00002E0D
	ds_write_b32 v13, v47 offset:11936                         // 000000008370: D81A2EA0 00002F0D
	v_mfma_f32_16x16x16_f16 v[56:59], a[96:97], a[8:9], 0      // 000000008378: D3CD0038 1A021160
	v_mul_f32_e32 v152, s48, v152                              // 000000008380: 0B313030
	v_mul_f32_e32 v153, s48, v153                              // 000000008384: 0B333230
	v_mfma_f32_16x16x16_f16 v[56:59], a[98:99], a[10:11], v[56:59]// 000000008388: D3CD0038 1CE21562
	v_mul_f32_e32 v154, s48, v154                              // 000000008390: 0B353430
	v_mul_f32_e32 v155, s48, v155                              // 000000008394: 0B373630
	v_mfma_f32_16x16x16_f16 v[56:59], a[100:101], a[12:13], v[56:59]// 000000008398: D3CD0038 1CE21964
	v_cvt_pkrtz_f16_f32 v148, v148, v149                       // 0000000083A0: D2960094 00032B94
	v_cvt_pkrtz_f16_f32 v149, v150, v151                       // 0000000083A8: D2960095 00032F96
	v_mfma_f32_16x16x16_f16 v[56:59], a[102:103], a[14:15], v[56:59]// 0000000083B0: D3CD0038 1CE21D66
	v_cvt_pkrtz_f16_f32 v150, v152, v153                       // 0000000083B8: D2960096 00033398
	v_cvt_pkrtz_f16_f32 v151, v154, v155                       // 0000000083C0: D2960097 0003379A
	v_mfma_f32_16x16x16_f16 v[60:63], a[96:97], a[16:17], 0    // 0000000083C8: D3CD003C 1A022160
	v_mfma_f32_16x16x16_f16 v[60:63], a[98:99], a[18:19], v[60:63]// 0000000083D0: D3CD003C 1CF22562
	ds_write_b64 v22, v[148:149] offset:31232                  // 0000000083D8: D89A7A00 00009416
	v_mfma_f32_16x16x16_f16 v[60:63], a[100:101], a[20:21], v[60:63]// 0000000083E0: D3CD003C 1CF22964
	v_mfma_f32_16x16x16_f16 v[60:63], a[102:103], a[22:23], v[60:63]// 0000000083E8: D3CD003C 1CF22D66
	ds_write_b64 v22, v[150:151] offset:31776                  // 0000000083F0: D89A7C20 00009616
	v_mfma_f32_16x16x16_f16 v[64:67], a[104:105], a[0:1], 0    // 0000000083F8: D3CD0040 1A020168
	v_mfma_f32_16x16x16_f16 v[64:67], a[106:107], a[2:3], v[64:67]// 000000008400: D3CD0040 1D02056A
	ds_read_b128 v[124:127], v14 offset:13056                  // 000000008408: D9FE3300 7C00000E
	ds_write_b32 v13, v36                                      // 000000008410: D81A0000 0000240D
	v_mfma_f32_16x16x16_f16 v[64:67], a[108:109], a[4:5], v[64:67]// 000000008418: D3CD0040 1D02096C
	v_mfma_f32_16x16x16_f16 v[64:67], a[110:111], a[6:7], v[64:67]// 000000008420: D3CD0040 1D020D6E
	v_mfma_f32_16x16x16_f16 v[68:71], a[104:105], a[8:9], 0    // 000000008428: D3CD0044 1A021168
	ds_read_b128 v[128:131], v14 offset:13568                  // 000000008430: D9FE3500 8000000E
	ds_write_b32 v13, v37 offset:1056                          // 000000008438: D81A0420 0000250D
	v_mfma_f32_16x16x16_f16 v[68:71], a[106:107], a[10:11], v[68:71]// 000000008440: D3CD0044 1D12156A
	v_mfma_f32_16x16x16_f16 v[68:71], a[108:109], a[12:13], v[68:71]// 000000008448: D3CD0044 1D12196C
	v_mfma_f32_16x16x16_f16 v[68:71], a[110:111], a[14:15], v[68:71]// 000000008450: D3CD0044 1D121D6E
	ds_read_b128 v[132:135], v14 offset:15232                  // 000000008458: D9FE3B80 8400000E
	ds_write_b32 v13, v38 offset:2176                          // 000000008460: D81A0880 0000260D
	v_mfma_f32_16x16x16_f16 v[72:75], a[104:105], a[16:17], 0  // 000000008468: D3CD0048 1A022168
	v_mfma_f32_16x16x16_f16 v[72:75], a[106:107], a[18:19], v[72:75]// 000000008470: D3CD0048 1D22256A
	v_mfma_f32_16x16x16_f16 v[72:75], a[108:109], a[20:21], v[72:75]// 000000008478: D3CD0048 1D22296C
	ds_read_b128 v[136:139], v14 offset:15744                  // 000000008480: D9FE3D80 8800000E
	ds_write_b32 v13, v39 offset:3232                          // 000000008488: D81A0CA0 0000270D
	v_mfma_f32_16x16x16_f16 v[72:75], a[110:111], a[22:23], v[72:75]// 000000008490: D3CD0048 1D222D6E
	s_cmp_lt_i32 s74, 12                                       // 000000008498: BF048C4A
	s_cbranch_scc0 label_120E                                  // 00000000849C: BF8400E6
	s_mov_b32 s60, 0xffe0fffe                                  // 0000000084A0: BEBC00FF FFE0FFFE
	s_mov_b32 s61, 0xe000fe00                                  // 0000000084A8: BEBD00FF E000FE00
	s_nop 0                                                    // 0000000084B0: BF800000
	s_add_u32 s62, 0, s47                                      // 0000000084B4: 803E2F80
	s_cmp_lt_i32 s74, s62                                      // 0000000084B8: BF043E4A
	s_cbranch_scc1 label_1158                                  // 0000000084BC: BF850028
	s_cmp_eq_i32 s74, s62                                      // 0000000084C0: BF003E4A
	s_cbranch_scc1 label_113D                                  // 0000000084C4: BF85000B
	s_add_u32 s62, 4, s47                                      // 0000000084C8: 803E2F84
	s_cmp_lt_i32 s74, s62                                      // 0000000084CC: BF043E4A
	s_cbranch_scc1 label_1178                                  // 0000000084D0: BF850043
	s_cmp_eq_i32 s74, s62                                      // 0000000084D4: BF003E4A
	s_cbranch_scc1 label_115D                                  // 0000000084D8: BF850026
	s_add_u32 s62, 8, s47                                      // 0000000084DC: 803E2F88
	s_cmp_lt_i32 s74, s62                                      // 0000000084E0: BF043E4A
	s_cbranch_scc1 label_1198                                  // 0000000084E4: BF85005E
	s_cmp_eq_i32 s74, s62                                      // 0000000084E8: BF003E4A
	s_cbranch_scc1 label_117D                                  // 0000000084EC: BF850041
	s_branch label_119D                                        // 0000000084F0: BF820060

00000000000084f4 <label_113D>:
	v_cndmask_b32_e64 v52, v52, v178, s[60:61]                 // 0000000084F4: D1000034 00F36534
	s_lshl_b32 s60, s60, 1                                     // 0000000084FC: 8E3C813C
	s_lshl_b32 s61, s61, 1                                     // 000000008500: 8E3D813D
	s_and_b32 s60, 0xfffeffff, s60                             // 000000008504: 863C3CFF FFFEFFFF
	s_and_b32 s61, 0xfffeffff, s61                             // 00000000850C: 863D3DFF FFFEFFFF
	v_cndmask_b32_e64 v53, v53, v178, s[60:61]                 // 000000008514: D1000035 00F36535
	s_lshl_b32 s60, s60, 1                                     // 00000000851C: 8E3C813C
	s_lshl_b32 s61, s61, 1                                     // 000000008520: 8E3D813D
	s_and_b32 s60, 0xfffeffff, s60                             // 000000008524: 863C3CFF FFFEFFFF
	s_and_b32 s61, 0xfffeffff, s61                             // 00000000852C: 863D3DFF FFFEFFFF
	v_cndmask_b32_e64 v54, v54, v178, s[60:61]                 // 000000008534: D1000036 00F36536
	s_lshl_b32 s60, s60, 1                                     // 00000000853C: 8E3C813C
	s_lshl_b32 s61, s61, 1                                     // 000000008540: 8E3D813D
	s_and_b32 s60, 0xfffeffff, s60                             // 000000008544: 863C3CFF FFFEFFFF
	s_and_b32 s61, 0xfffeffff, s61                             // 00000000854C: 863D3DFF FFFEFFFF
	v_cndmask_b32_e64 v55, v55, v178, s[60:61]                 // 000000008554: D1000037 00F36537
	s_branch label_1178                                        // 00000000855C: BF820020

0000000000008560 <label_1158>:
	v_mov_b32_e32 v52, v178                                    // 000000008560: 7E6803B2
	v_mov_b32_e32 v53, v178                                    // 000000008564: 7E6A03B2
	v_mov_b32_e32 v54, v178                                    // 000000008568: 7E6C03B2
	v_mov_b32_e32 v55, v178                                    // 00000000856C: 7E6E03B2
	s_branch label_1178                                        // 000000008570: BF82001B

0000000000008574 <label_115D>:
	v_cndmask_b32_e64 v56, v56, v178, s[60:61]                 // 000000008574: D1000038 00F36538
	s_lshl_b32 s60, s60, 1                                     // 00000000857C: 8E3C813C
	s_lshl_b32 s61, s61, 1                                     // 000000008580: 8E3D813D
	s_and_b32 s60, 0xfffeffff, s60                             // 000000008584: 863C3CFF FFFEFFFF
	s_and_b32 s61, 0xfffeffff, s61                             // 00000000858C: 863D3DFF FFFEFFFF
	v_cndmask_b32_e64 v57, v57, v178, s[60:61]                 // 000000008594: D1000039 00F36539
	s_lshl_b32 s60, s60, 1                                     // 00000000859C: 8E3C813C
	s_lshl_b32 s61, s61, 1                                     // 0000000085A0: 8E3D813D
	s_and_b32 s60, 0xfffeffff, s60                             // 0000000085A4: 863C3CFF FFFEFFFF
	s_and_b32 s61, 0xfffeffff, s61                             // 0000000085AC: 863D3DFF FFFEFFFF
	v_cndmask_b32_e64 v58, v58, v178, s[60:61]                 // 0000000085B4: D100003A 00F3653A
	s_lshl_b32 s60, s60, 1                                     // 0000000085BC: 8E3C813C
	s_lshl_b32 s61, s61, 1                                     // 0000000085C0: 8E3D813D
	s_and_b32 s60, 0xfffeffff, s60                             // 0000000085C4: 863C3CFF FFFEFFFF
	s_and_b32 s61, 0xfffeffff, s61                             // 0000000085CC: 863D3DFF FFFEFFFF
	v_cndmask_b32_e64 v59, v59, v178, s[60:61]                 // 0000000085D4: D100003B 00F3653B
	s_branch label_1198                                        // 0000000085DC: BF820020

00000000000085e0 <label_1178>:
	v_mov_b32_e32 v56, v178                                    // 0000000085E0: 7E7003B2
	v_mov_b32_e32 v57, v178                                    // 0000000085E4: 7E7203B2
	v_mov_b32_e32 v58, v178                                    // 0000000085E8: 7E7403B2
	v_mov_b32_e32 v59, v178                                    // 0000000085EC: 7E7603B2
	s_branch label_1198                                        // 0000000085F0: BF82001B

00000000000085f4 <label_117D>:
	v_cndmask_b32_e64 v60, v60, v178, s[60:61]                 // 0000000085F4: D100003C 00F3653C
	s_lshl_b32 s60, s60, 1                                     // 0000000085FC: 8E3C813C
	s_lshl_b32 s61, s61, 1                                     // 000000008600: 8E3D813D
	s_and_b32 s60, 0xfffeffff, s60                             // 000000008604: 863C3CFF FFFEFFFF
	s_and_b32 s61, 0xfffeffff, s61                             // 00000000860C: 863D3DFF FFFEFFFF
	v_cndmask_b32_e64 v61, v61, v178, s[60:61]                 // 000000008614: D100003D 00F3653D
	s_lshl_b32 s60, s60, 1                                     // 00000000861C: 8E3C813C
	s_lshl_b32 s61, s61, 1                                     // 000000008620: 8E3D813D
	s_and_b32 s60, 0xfffeffff, s60                             // 000000008624: 863C3CFF FFFEFFFF
	s_and_b32 s61, 0xfffeffff, s61                             // 00000000862C: 863D3DFF FFFEFFFF
	v_cndmask_b32_e64 v62, v62, v178, s[60:61]                 // 000000008634: D100003E 00F3653E
	s_lshl_b32 s60, s60, 1                                     // 00000000863C: 8E3C813C
	s_lshl_b32 s61, s61, 1                                     // 000000008640: 8E3D813D
	s_and_b32 s60, 0xfffeffff, s60                             // 000000008644: 863C3CFF FFFEFFFF
	s_and_b32 s61, 0xfffeffff, s61                             // 00000000864C: 863D3DFF FFFEFFFF
	v_cndmask_b32_e64 v63, v63, v178, s[60:61]                 // 000000008654: D100003F 00F3653F
	s_branch label_119D                                        // 00000000865C: BF820005

0000000000008660 <label_1198>:
	v_mov_b32_e32 v60, v178                                    // 000000008660: 7E7803B2
	v_mov_b32_e32 v61, v178                                    // 000000008664: 7E7A03B2
	v_mov_b32_e32 v62, v178                                    // 000000008668: 7E7C03B2
	v_mov_b32_e32 v63, v178                                    // 00000000866C: 7E7E03B2
	s_branch label_119D                                        // 000000008670: BF820000

0000000000008674 <label_119D>:
	s_addk_i32 s74, 0x1                                        // 000000008674: B74A0001
	s_add_u32 s62, 0, s47                                      // 000000008678: 803E2F80
	s_cmp_lt_i32 s74, s62                                      // 00000000867C: BF043E4A
	s_cbranch_scc1 label_11C9                                  // 000000008680: BF850028
	s_cmp_eq_i32 s74, s62                                      // 000000008684: BF003E4A
	s_cbranch_scc1 label_11AE                                  // 000000008688: BF85000B
	s_add_u32 s62, 4, s47                                      // 00000000868C: 803E2F84
	s_cmp_lt_i32 s74, s62                                      // 000000008690: BF043E4A
	s_cbranch_scc1 label_11E9                                  // 000000008694: BF850043
	s_cmp_eq_i32 s74, s62                                      // 000000008698: BF003E4A
	s_cbranch_scc1 label_11CE                                  // 00000000869C: BF850026
	s_add_u32 s62, 8, s47                                      // 0000000086A0: 803E2F88
	s_cmp_lt_i32 s74, s62                                      // 0000000086A4: BF043E4A
	s_cbranch_scc1 label_1209                                  // 0000000086A8: BF85005E
	s_cmp_eq_i32 s74, s62                                      // 0000000086AC: BF003E4A
	s_cbranch_scc1 label_11EE                                  // 0000000086B0: BF850041
	s_branch label_120E                                        // 0000000086B4: BF820060

00000000000086b8 <label_11AE>:
	v_cndmask_b32_e64 v64, v64, v178, s[60:61]                 // 0000000086B8: D1000040 00F36540
	s_lshl_b32 s60, s60, 1                                     // 0000000086C0: 8E3C813C
	s_lshl_b32 s61, s61, 1                                     // 0000000086C4: 8E3D813D
	s_and_b32 s60, 0xfffeffff, s60                             // 0000000086C8: 863C3CFF FFFEFFFF
	s_and_b32 s61, 0xfffeffff, s61                             // 0000000086D0: 863D3DFF FFFEFFFF
	v_cndmask_b32_e64 v65, v65, v178, s[60:61]                 // 0000000086D8: D1000041 00F36541
	s_lshl_b32 s60, s60, 1                                     // 0000000086E0: 8E3C813C
	s_lshl_b32 s61, s61, 1                                     // 0000000086E4: 8E3D813D
	s_and_b32 s60, 0xfffeffff, s60                             // 0000000086E8: 863C3CFF FFFEFFFF
	s_and_b32 s61, 0xfffeffff, s61                             // 0000000086F0: 863D3DFF FFFEFFFF
	v_cndmask_b32_e64 v66, v66, v178, s[60:61]                 // 0000000086F8: D1000042 00F36542
	s_lshl_b32 s60, s60, 1                                     // 000000008700: 8E3C813C
	s_lshl_b32 s61, s61, 1                                     // 000000008704: 8E3D813D
	s_and_b32 s60, 0xfffeffff, s60                             // 000000008708: 863C3CFF FFFEFFFF
	s_and_b32 s61, 0xfffeffff, s61                             // 000000008710: 863D3DFF FFFEFFFF
	v_cndmask_b32_e64 v67, v67, v178, s[60:61]                 // 000000008718: D1000043 00F36543
	s_branch label_11E9                                        // 000000008720: BF820020

0000000000008724 <label_11C9>:
	v_mov_b32_e32 v64, v178                                    // 000000008724: 7E8003B2
	v_mov_b32_e32 v65, v178                                    // 000000008728: 7E8203B2
	v_mov_b32_e32 v66, v178                                    // 00000000872C: 7E8403B2
	v_mov_b32_e32 v67, v178                                    // 000000008730: 7E8603B2
	s_branch label_11E9                                        // 000000008734: BF82001B

0000000000008738 <label_11CE>:
	v_cndmask_b32_e64 v68, v68, v178, s[60:61]                 // 000000008738: D1000044 00F36544
	s_lshl_b32 s60, s60, 1                                     // 000000008740: 8E3C813C
	s_lshl_b32 s61, s61, 1                                     // 000000008744: 8E3D813D
	s_and_b32 s60, 0xfffeffff, s60                             // 000000008748: 863C3CFF FFFEFFFF
	s_and_b32 s61, 0xfffeffff, s61                             // 000000008750: 863D3DFF FFFEFFFF
	v_cndmask_b32_e64 v69, v69, v178, s[60:61]                 // 000000008758: D1000045 00F36545
	s_lshl_b32 s60, s60, 1                                     // 000000008760: 8E3C813C
	s_lshl_b32 s61, s61, 1                                     // 000000008764: 8E3D813D
	s_and_b32 s60, 0xfffeffff, s60                             // 000000008768: 863C3CFF FFFEFFFF
	s_and_b32 s61, 0xfffeffff, s61                             // 000000008770: 863D3DFF FFFEFFFF
	v_cndmask_b32_e64 v70, v70, v178, s[60:61]                 // 000000008778: D1000046 00F36546
	s_lshl_b32 s60, s60, 1                                     // 000000008780: 8E3C813C
	s_lshl_b32 s61, s61, 1                                     // 000000008784: 8E3D813D
	s_and_b32 s60, 0xfffeffff, s60                             // 000000008788: 863C3CFF FFFEFFFF
	s_and_b32 s61, 0xfffeffff, s61                             // 000000008790: 863D3DFF FFFEFFFF
	v_cndmask_b32_e64 v71, v71, v178, s[60:61]                 // 000000008798: D1000047 00F36547
	s_branch label_1209                                        // 0000000087A0: BF820020

00000000000087a4 <label_11E9>:
	v_mov_b32_e32 v68, v178                                    // 0000000087A4: 7E8803B2
	v_mov_b32_e32 v69, v178                                    // 0000000087A8: 7E8A03B2
	v_mov_b32_e32 v70, v178                                    // 0000000087AC: 7E8C03B2
	v_mov_b32_e32 v71, v178                                    // 0000000087B0: 7E8E03B2
	s_branch label_1209                                        // 0000000087B4: BF82001B

00000000000087b8 <label_11EE>:
	v_cndmask_b32_e64 v72, v72, v178, s[60:61]                 // 0000000087B8: D1000048 00F36548
	s_lshl_b32 s60, s60, 1                                     // 0000000087C0: 8E3C813C
	s_lshl_b32 s61, s61, 1                                     // 0000000087C4: 8E3D813D
	s_and_b32 s60, 0xfffeffff, s60                             // 0000000087C8: 863C3CFF FFFEFFFF
	s_and_b32 s61, 0xfffeffff, s61                             // 0000000087D0: 863D3DFF FFFEFFFF
	v_cndmask_b32_e64 v73, v73, v178, s[60:61]                 // 0000000087D8: D1000049 00F36549
	s_lshl_b32 s60, s60, 1                                     // 0000000087E0: 8E3C813C
	s_lshl_b32 s61, s61, 1                                     // 0000000087E4: 8E3D813D
	s_and_b32 s60, 0xfffeffff, s60                             // 0000000087E8: 863C3CFF FFFEFFFF
	s_and_b32 s61, 0xfffeffff, s61                             // 0000000087F0: 863D3DFF FFFEFFFF
	v_cndmask_b32_e64 v74, v74, v178, s[60:61]                 // 0000000087F8: D100004A 00F3654A
	s_lshl_b32 s60, s60, 1                                     // 000000008800: 8E3C813C
	s_lshl_b32 s61, s61, 1                                     // 000000008804: 8E3D813D
	s_and_b32 s60, 0xfffeffff, s60                             // 000000008808: 863C3CFF FFFEFFFF
	s_and_b32 s61, 0xfffeffff, s61                             // 000000008810: 863D3DFF FFFEFFFF
	v_cndmask_b32_e64 v75, v75, v178, s[60:61]                 // 000000008818: D100004B 00F3654B
	s_branch label_120E                                        // 000000008820: BF820005

0000000000008824 <label_1209>:
	v_mov_b32_e32 v72, v178                                    // 000000008824: 7E9003B2
	v_mov_b32_e32 v73, v178                                    // 000000008828: 7E9203B2
	v_mov_b32_e32 v74, v178                                    // 00000000882C: 7E9403B2
	v_mov_b32_e32 v75, v178                                    // 000000008830: 7E9603B2
	s_branch label_120E                                        // 000000008834: BF820000

0000000000008838 <label_120E>:
	s_addk_i32 s74, 0x1                                        // 000000008838: B74A0001
	s_waitcnt lgkmcnt(8)                                       // 00000000883C: BF8CC87F
	s_barrier                                                  // 000000008840: BF8A0000
	v_mfma_f32_16x16x16_f16 v[76:79], v[108:109], a[72:73], 0  // 000000008844: D3CD004C 1202916C
	v_fma_f32 v52, v52, s57, -v140                             // 00000000884C: D1CB0034 86307334
	v_fma_f32 v53, v53, s57, -v141                             // 000000008854: D1CB0035 86347335
	v_fma_f32 v54, v54, s57, -v142                             // 00000000885C: D1CB0036 86387336
	v_fma_f32 v55, v55, s57, -v143                             // 000000008864: D1CB0037 863C7337
	v_fma_f32 v56, v56, s57, -v140                             // 00000000886C: D1CB0038 86307338
	v_fma_f32 v57, v57, s57, -v141                             // 000000008874: D1CB0039 86347339
	v_mfma_f32_16x16x16_f16 v[76:79], v[110:111], a[74:75], v[76:79]// 00000000887C: D3CD004C 1532956E
	ds_read_b128 a[96:99], v14 offset:4352                     // 000000008884: DBFE1100 6000000E
	ds_read_b128 a[100:103], v14 offset:4864                   // 00000000888C: DBFE1300 6400000E
	v_mfma_f32_16x16x16_f16 v[76:79], v[112:113], a[76:77], v[76:79]// 000000008894: D3CD004C 15329970
	v_fma_f32 v58, v58, s57, -v142                             // 00000000889C: D1CB003A 8638733A
	v_fma_f32 v59, v59, s57, -v143                             // 0000000088A4: D1CB003B 863C733B
	v_fma_f32 v60, v60, s57, -v140                             // 0000000088AC: D1CB003C 8630733C
	v_fma_f32 v61, v61, s57, -v141                             // 0000000088B4: D1CB003D 8634733D
	v_fma_f32 v62, v62, s57, -v142                             // 0000000088BC: D1CB003E 8638733E
	v_fma_f32 v63, v63, s57, -v143                             // 0000000088C4: D1CB003F 863C733F
	v_mfma_f32_16x16x16_f16 v[76:79], v[114:115], a[78:79], v[76:79]// 0000000088CC: D3CD004C 15329D72
	v_fma_f32 v64, v64, s57, -v144                             // 0000000088D4: D1CB0040 86407340
	v_fma_f32 v65, v65, s57, -v145                             // 0000000088DC: D1CB0041 86447341
	v_fma_f32 v66, v66, s57, -v146                             // 0000000088E4: D1CB0042 86487342
	v_fma_f32 v67, v67, s57, -v147                             // 0000000088EC: D1CB0043 864C7343
	v_fma_f32 v68, v68, s57, -v144                             // 0000000088F4: D1CB0044 86407344
	v_fma_f32 v69, v69, s57, -v145                             // 0000000088FC: D1CB0045 86447345
	v_mfma_f32_16x16x16_f16 v[80:83], v[108:109], a[80:81], 0  // 000000008904: D3CD0050 1202A16C
	v_fma_f32 v70, v70, s57, -v146                             // 00000000890C: D1CB0046 86487346
	v_fma_f32 v71, v71, s57, -v147                             // 000000008914: D1CB0047 864C7347
	v_fma_f32 v72, v72, s57, -v144                             // 00000000891C: D1CB0048 86407348
	v_fma_f32 v73, v73, s57, -v145                             // 000000008924: D1CB0049 86447349
	v_fma_f32 v74, v74, s57, -v146                             // 00000000892C: D1CB004A 8648734A
	v_fma_f32 v75, v75, s57, -v147                             // 000000008934: D1CB004B 864C734B
	v_mfma_f32_16x16x16_f16 v[80:83], v[110:111], a[82:83], v[80:83]// 00000000893C: D3CD0050 1542A56E
	ds_read_b128 a[104:107], v14 offset:6528                   // 000000008944: DBFE1980 6800000E
	ds_read_b128 a[108:111], v14 offset:7040                   // 00000000894C: DBFE1B80 6C00000E
	v_mfma_f32_16x16x16_f16 v[80:83], v[112:113], a[84:85], v[80:83]// 000000008954: D3CD0050 1542A970
	v_exp_f32_e32 v52, v52                                     // 00000000895C: 7E684134
	v_exp_f32_e32 v53, v53                                     // 000000008960: 7E6A4135
	v_mfma_f32_16x16x16_f16 v[80:83], v[114:115], a[86:87], v[80:83]// 000000008964: D3CD0050 1542AD72
	v_exp_f32_e32 v54, v54                                     // 00000000896C: 7E6C4136
	v_exp_f32_e32 v55, v55                                     // 000000008970: 7E6E4137
	v_mfma_f32_16x16x16_f16 v[84:87], v[108:109], a[88:89], 0  // 000000008974: D3CD0054 1202B16C
	v_exp_f32_e32 v56, v56                                     // 00000000897C: 7E704138
	v_exp_f32_e32 v57, v57                                     // 000000008980: 7E724139
	v_mfma_f32_16x16x16_f16 v[84:87], v[110:111], a[90:91], v[84:87]// 000000008984: D3CD0054 1552B56E
	ds_read_b32 v156, v21 offset:31232                         // 00000000898C: D86C7A00 9C000015
	ds_read_b32 v157, v21 offset:31248                         // 000000008994: D86C7A10 9D000015
	v_mfma_f32_16x16x16_f16 v[84:87], v[112:113], a[92:93], v[84:87]// 00000000899C: D3CD0054 1552B970
	v_exp_f32_e32 v58, v58                                     // 0000000089A4: 7E74413A
	v_exp_f32_e32 v59, v59                                     // 0000000089A8: 7E76413B
	v_mfma_f32_16x16x16_f16 v[84:87], v[114:115], a[94:95], v[84:87]// 0000000089AC: D3CD0054 1552BD72
	ds_read_b32 v158, v21 offset:31264                         // 0000000089B4: D86C7A20 9E000015
	ds_read_b32 v159, v21 offset:31280                         // 0000000089BC: D86C7A30 9F000015
	v_mfma_f32_16x16x16_f16 v[88:91], v[116:117], a[72:73], 0  // 0000000089C4: D3CD0058 12029174
	v_exp_f32_e32 v60, v60                                     // 0000000089CC: 7E78413C
	v_exp_f32_e32 v61, v61                                     // 0000000089D0: 7E7A413D
	v_mfma_f32_16x16x16_f16 v[88:91], v[118:119], a[74:75], v[88:91]// 0000000089D4: D3CD0058 15629576
	v_exp_f32_e32 v62, v62                                     // 0000000089DC: 7E7C413E
	v_exp_f32_e32 v63, v63                                     // 0000000089E0: 7E7E413F
	v_mfma_f32_16x16x16_f16 v[88:91], v[120:121], a[76:77], v[88:91]// 0000000089E4: D3CD0058 15629978
	v_exp_f32_e32 v64, v64                                     // 0000000089EC: 7E804140
	v_exp_f32_e32 v65, v65                                     // 0000000089F0: 7E824141
	v_mfma_f32_16x16x16_f16 v[88:91], v[122:123], a[78:79], v[88:91]// 0000000089F4: D3CD0058 15629D7A
	v_exp_f32_e32 v66, v66                                     // 0000000089FC: 7E844142
	v_exp_f32_e32 v67, v67                                     // 000000008A00: 7E864143
	v_mfma_f32_16x16x16_f16 v[92:95], v[116:117], a[80:81], 0  // 000000008A04: D3CD005C 1202A174
	v_exp_f32_e32 v68, v68                                     // 000000008A0C: 7E884144
	v_exp_f32_e32 v69, v69                                     // 000000008A10: 7E8A4145
	v_mfma_f32_16x16x16_f16 v[92:95], v[118:119], a[82:83], v[92:95]// 000000008A14: D3CD005C 1572A576
	v_exp_f32_e32 v70, v70                                     // 000000008A1C: 7E8C4146
	v_exp_f32_e32 v71, v71                                     // 000000008A20: 7E8E4147
	v_mfma_f32_16x16x16_f16 v[92:95], v[120:121], a[84:85], v[92:95]// 000000008A24: D3CD005C 1572A978
	v_exp_f32_e32 v72, v72                                     // 000000008A2C: 7E904148
	v_exp_f32_e32 v73, v73                                     // 000000008A30: 7E924149
	v_mfma_f32_16x16x16_f16 v[92:95], v[122:123], a[86:87], v[92:95]// 000000008A34: D3CD005C 1572AD7A
	v_exp_f32_e32 v74, v74                                     // 000000008A3C: 7E94414A
	v_exp_f32_e32 v75, v75                                     // 000000008A40: 7E96414B
	v_mfma_f32_16x16x16_f16 v[96:99], v[116:117], a[88:89], 0  // 000000008A44: D3CD0060 1202B174
	v_cvt_pkrtz_f16_f32 v164, v52, v53                         // 000000008A4C: D29600A4 00026B34
	v_cvt_pkrtz_f16_f32 v165, v54, v55                         // 000000008A54: D29600A5 00026F36
	v_cvt_pkrtz_f16_f32 v166, v56, v57                         // 000000008A5C: D29600A6 00027338
	v_cvt_pkrtz_f16_f32 v167, v58, v59                         // 000000008A64: D29600A7 0002773A
	v_cvt_pkrtz_f16_f32 v168, v60, v61                         // 000000008A6C: D29600A8 00027B3C
	v_cvt_pkrtz_f16_f32 v169, v62, v63                         // 000000008A74: D29600A9 00027F3E
	v_mfma_f32_16x16x16_f16 v[96:99], v[118:119], a[90:91], v[96:99]// 000000008A7C: D3CD0060 1582B576
	v_cvt_pkrtz_f16_f32 v170, v64, v65                         // 000000008A84: D29600AA 00028340
	v_cvt_pkrtz_f16_f32 v171, v66, v67                         // 000000008A8C: D29600AB 00028742
	v_cvt_pkrtz_f16_f32 v172, v68, v69                         // 000000008A94: D29600AC 00028B44
	v_cvt_pkrtz_f16_f32 v173, v70, v71                         // 000000008A9C: D29600AD 00028F46
	v_cvt_pkrtz_f16_f32 v174, v72, v73                         // 000000008AA4: D29600AE 00029348
	v_cvt_pkrtz_f16_f32 v175, v74, v75                         // 000000008AAC: D29600AF 0002974A
	v_mfma_f32_16x16x16_f16 v[96:99], v[120:121], a[92:93], v[96:99]// 000000008AB4: D3CD0060 1582B978
	s_add_u32 s32, s66, s32                                    // 000000008ABC: 80202042
	s_addc_u32 s33, 0, s33                                     // 000000008AC0: 82212180
	v_mfma_f32_16x16x16_f16 v[96:99], v[122:123], a[94:95], v[96:99]// 000000008AC4: D3CD0060 1582BD7A
	s_waitcnt lgkmcnt(0)                                       // 000000008ACC: BF8CC07F
	s_barrier                                                  // 000000008AD0: BF8A0000
	v_mfma_f32_16x16x16_f16 v[180:183], v[124:125], v[164:165], v[180:183]// 000000008AD4: D3CD00B4 06D3497C
	v_subrev_f32_dpp v76, v176, v76 quad_perm:[0,0,0,0] row_mask:0xf bank_mask:0xf// 000000008ADC: 069898FA FF0000B0
	v_subrev_f32_dpp v77, v176, v77 quad_perm:[1,1,1,1] row_mask:0xf bank_mask:0xf// 000000008AE4: 069A9AFA FF0055B0
	v_subrev_f32_dpp v78, v176, v78 quad_perm:[2,2,2,2] row_mask:0xf bank_mask:0xf// 000000008AEC: 069C9CFA FF00AAB0
	v_subrev_f32_dpp v79, v176, v79 quad_perm:[3,3,3,3] row_mask:0xf bank_mask:0xf// 000000008AF4: 069E9EFA FF00FFB0
	v_subrev_f32_dpp v80, v176, v80 quad_perm:[0,0,0,0] row_mask:0xf bank_mask:0xf// 000000008AFC: 06A0A0FA FF0000B0
	v_subrev_f32_dpp v81, v176, v81 quad_perm:[1,1,1,1] row_mask:0xf bank_mask:0xf// 000000008B04: 06A2A2FA FF0055B0
	v_mfma_f32_16x16x16_f16 v[184:187], v[126:127], v[164:165], v[184:187]// 000000008B0C: D3CD00B8 06E3497E
	v_subrev_f32_dpp v82, v176, v82 quad_perm:[2,2,2,2] row_mask:0xf bank_mask:0xf// 000000008B14: 06A4A4FA FF00AAB0
	v_subrev_f32_dpp v83, v176, v83 quad_perm:[3,3,3,3] row_mask:0xf bank_mask:0xf// 000000008B1C: 06A6A6FA FF00FFB0
	v_subrev_f32_dpp v84, v176, v84 quad_perm:[0,0,0,0] row_mask:0xf bank_mask:0xf// 000000008B24: 06A8A8FA FF0000B0
	v_subrev_f32_dpp v85, v176, v85 quad_perm:[1,1,1,1] row_mask:0xf bank_mask:0xf// 000000008B2C: 06AAAAFA FF0055B0
	v_subrev_f32_dpp v86, v176, v86 quad_perm:[2,2,2,2] row_mask:0xf bank_mask:0xf// 000000008B34: 06ACACFA FF00AAB0
	v_subrev_f32_dpp v87, v176, v87 quad_perm:[3,3,3,3] row_mask:0xf bank_mask:0xf// 000000008B3C: 06AEAEFA FF00FFB0
	v_mfma_f32_16x16x16_f16 v[188:191], v[128:129], v[164:165], v[188:191]// 000000008B44: D3CD00BC 06F34980
	v_mul_f32_e32 v76, v52, v76                                // 000000008B4C: 0A989934
	v_mul_f32_e32 v77, v53, v77                                // 000000008B50: 0A9A9B35
	v_mul_f32_e32 v78, v54, v78                                // 000000008B54: 0A9C9D36
	v_mul_f32_e32 v79, v55, v79                                // 000000008B58: 0A9E9F37
	v_mul_f32_e32 v80, v56, v80                                // 000000008B5C: 0AA0A138
	v_mul_f32_e32 v81, v57, v81                                // 000000008B60: 0AA2A339
	v_mfma_f32_16x16x16_f16 v[192:195], v[130:131], v[164:165], v[192:195]// 000000008B64: D3CD00C0 07034982
	v_mul_f32_e32 v82, v58, v82                                // 000000008B6C: 0AA4A53A
	v_mul_f32_e32 v83, v59, v83                                // 000000008B70: 0AA6A73B
	v_mul_f32_e32 v84, v60, v84                                // 000000008B74: 0AA8A93C
	v_mul_f32_e32 v85, v61, v85                                // 000000008B78: 0AAAAB3D
	v_mul_f32_e32 v86, v62, v86                                // 000000008B7C: 0AACAD3E
	v_mul_f32_e32 v87, v63, v87                                // 000000008B80: 0AAEAF3F
	v_mfma_f32_16x16x16_f16 v[196:199], v[124:125], v[166:167], v[196:199]// 000000008B84: D3CD00C4 07134D7C
	v_cvt_pkrtz_f16_f32 v76, v76, v77                          // 000000008B8C: D296004C 00029B4C
	v_cvt_pkrtz_f16_f32 v77, v78, v79                          // 000000008B94: D296004D 00029F4E
	v_cvt_pkrtz_f16_f32 v78, v80, v81                          // 000000008B9C: D296004E 0002A350
	v_cvt_pkrtz_f16_f32 v79, v82, v83                          // 000000008BA4: D296004F 0002A752
	v_cvt_pkrtz_f16_f32 v80, v84, v85                          // 000000008BAC: D2960050 0002AB54
	v_cvt_pkrtz_f16_f32 v81, v86, v87                          // 000000008BB4: D2960051 0002AF56
	v_mfma_f32_16x16x16_f16 v[200:203], v[126:127], v[166:167], v[200:203]// 000000008BBC: D3CD00C8 07234D7E
	v_mov_b32_dpp v18, v76 quad_perm:[1,0,3,2] row_mask:0xf bank_mask:0xf// 000000008BC4: 7E2402FA FF00B14C
	v_perm_b32 v52, v18, v76, v17                              // 000000008BCC: D1ED0034 04469912
	v_mov_b32_dpp v18, v77 quad_perm:[1,0,3,2] row_mask:0xf bank_mask:0xf// 000000008BD4: 7E2402FA FF00B14D
	v_perm_b32 v53, v18, v77, v17                              // 000000008BDC: D1ED0035 04469B12
	v_mov_b32_dpp v18, v78 quad_perm:[1,0,3,2] row_mask:0xf bank_mask:0xf// 000000008BE4: 7E2402FA FF00B14E
	v_perm_b32 v54, v18, v78, v17                              // 000000008BEC: D1ED0036 04469D12
	v_mfma_f32_16x16x16_f16 v[204:207], v[128:129], v[166:167], v[204:207]// 000000008BF4: D3CD00CC 07334D80
	ds_write_b32 v20, v52 offset:17408                         // 000000008BFC: D81A4400 00003414
	ds_write_b32 v20, v53 offset:17952                         // 000000008C04: D81A4620 00003514
	v_mfma_f32_16x16x16_f16 v[208:211], v[130:131], v[166:167], v[208:211]// 000000008C0C: D3CD00D0 07434D82
	v_mov_b32_dpp v18, v79 quad_perm:[1,0,3,2] row_mask:0xf bank_mask:0xf// 000000008C14: 7E2402FA FF00B14F
	v_perm_b32 v55, v18, v79, v17                              // 000000008C1C: D1ED0037 04469F12
	v_mov_b32_dpp v18, v80 quad_perm:[1,0,3,2] row_mask:0xf bank_mask:0xf// 000000008C24: 7E2402FA FF00B150
	v_perm_b32 v56, v18, v80, v17                              // 000000008C2C: D1ED0038 0446A112
	v_mov_b32_dpp v18, v81 quad_perm:[1,0,3,2] row_mask:0xf bank_mask:0xf// 000000008C34: 7E2402FA FF00B151
	v_perm_b32 v57, v18, v81, v17                              // 000000008C3C: D1ED0039 0446A312
	v_mfma_f32_16x16x16_f16 v[212:215], v[124:125], v[168:169], v[212:215]// 000000008C44: D3CD00D4 0753517C
	ds_write_b32 v20, v54 offset:19712                         // 000000008C4C: D81A4D00 00003614
	ds_write_b32 v20, v55 offset:20256                         // 000000008C54: D81A4F20 00003714
	v_mfma_f32_16x16x16_f16 v[216:219], v[126:127], v[168:169], v[216:219]// 000000008C5C: D3CD00D8 0763517E
	v_subrev_f32_dpp v88, v177, v88 quad_perm:[0,0,0,0] row_mask:0xf bank_mask:0xf// 000000008C64: 06B0B0FA FF0000B1
	v_subrev_f32_dpp v89, v177, v89 quad_perm:[1,1,1,1] row_mask:0xf bank_mask:0xf// 000000008C6C: 06B2B2FA FF0055B1
	v_subrev_f32_dpp v90, v177, v90 quad_perm:[2,2,2,2] row_mask:0xf bank_mask:0xf// 000000008C74: 06B4B4FA FF00AAB1
	v_subrev_f32_dpp v91, v177, v91 quad_perm:[3,3,3,3] row_mask:0xf bank_mask:0xf// 000000008C7C: 06B6B6FA FF00FFB1
	v_subrev_f32_dpp v92, v177, v92 quad_perm:[0,0,0,0] row_mask:0xf bank_mask:0xf// 000000008C84: 06B8B8FA FF0000B1
	v_subrev_f32_dpp v93, v177, v93 quad_perm:[1,1,1,1] row_mask:0xf bank_mask:0xf// 000000008C8C: 06BABAFA FF0055B1
	v_mfma_f32_16x16x16_f16 v[220:223], v[128:129], v[168:169], v[220:223]// 000000008C94: D3CD00DC 07735180
	ds_write_b32 v20, v56 offset:22016                         // 000000008C9C: D81A5600 00003814
	ds_write_b32 v20, v57 offset:22560                         // 000000008CA4: D81A5820 00003914
	v_mfma_f32_16x16x16_f16 v[224:227], v[130:131], v[168:169], v[224:227]// 000000008CAC: D3CD00E0 07835182
	v_subrev_f32_dpp v94, v177, v94 quad_perm:[2,2,2,2] row_mask:0xf bank_mask:0xf// 000000008CB4: 06BCBCFA FF00AAB1
	v_subrev_f32_dpp v95, v177, v95 quad_perm:[3,3,3,3] row_mask:0xf bank_mask:0xf// 000000008CBC: 06BEBEFA FF00FFB1
	v_subrev_f32_dpp v96, v177, v96 quad_perm:[0,0,0,0] row_mask:0xf bank_mask:0xf// 000000008CC4: 06C0C0FA FF0000B1
	v_subrev_f32_dpp v97, v177, v97 quad_perm:[1,1,1,1] row_mask:0xf bank_mask:0xf// 000000008CCC: 06C2C2FA FF0055B1
	v_subrev_f32_dpp v98, v177, v98 quad_perm:[2,2,2,2] row_mask:0xf bank_mask:0xf// 000000008CD4: 06C4C4FA FF00AAB1
	v_subrev_f32_dpp v99, v177, v99 quad_perm:[3,3,3,3] row_mask:0xf bank_mask:0xf// 000000008CDC: 06C6C6FA FF00FFB1
	v_mfma_f32_16x16x16_f16 v[180:183], v[132:133], v[170:171], v[180:183]// 000000008CE4: D3CD00B4 06D35584
	v_mul_f32_e32 v88, v64, v88                                // 000000008CEC: 0AB0B140
	v_mul_f32_e32 v89, v65, v89                                // 000000008CF0: 0AB2B341
	v_mul_f32_e32 v90, v66, v90                                // 000000008CF4: 0AB4B542
	v_mul_f32_e32 v91, v67, v91                                // 000000008CF8: 0AB6B743
	v_mul_f32_e32 v92, v68, v92                                // 000000008CFC: 0AB8B944
	v_mul_f32_e32 v93, v69, v93                                // 000000008D00: 0ABABB45
	v_mfma_f32_16x16x16_f16 v[184:187], v[134:135], v[170:171], v[184:187]// 000000008D04: D3CD00B8 06E35586
	v_mul_f32_e32 v94, v70, v94                                // 000000008D0C: 0ABCBD46
	v_mul_f32_e32 v95, v71, v95                                // 000000008D10: 0ABEBF47
	v_mul_f32_e32 v96, v72, v96                                // 000000008D14: 0AC0C148
	v_mul_f32_e32 v97, v73, v97                                // 000000008D18: 0AC2C349
	v_mul_f32_e32 v98, v74, v98                                // 000000008D1C: 0AC4C54A
	v_mul_f32_e32 v99, v75, v99                                // 000000008D20: 0AC6C74B
	v_mfma_f32_16x16x16_f16 v[188:191], v[136:137], v[170:171], v[188:191]// 000000008D24: D3CD00BC 06F35588
	v_cvt_pkrtz_f16_f32 v82, v88, v89                          // 000000008D2C: D2960052 0002B358
	v_cvt_pkrtz_f16_f32 v83, v90, v91                          // 000000008D34: D2960053 0002B75A
	v_cvt_pkrtz_f16_f32 v84, v92, v93                          // 000000008D3C: D2960054 0002BB5C
	v_cvt_pkrtz_f16_f32 v85, v94, v95                          // 000000008D44: D2960055 0002BF5E
	v_cvt_pkrtz_f16_f32 v86, v96, v97                          // 000000008D4C: D2960056 0002C360
	v_cvt_pkrtz_f16_f32 v87, v98, v99                          // 000000008D54: D2960057 0002C762
	v_mfma_f32_16x16x16_f16 v[192:195], v[138:139], v[170:171], v[192:195]// 000000008D5C: D3CD00C0 0703558A
	v_mov_b32_dpp v18, v82 quad_perm:[1,0,3,2] row_mask:0xf bank_mask:0xf// 000000008D64: 7E2402FA FF00B152
	v_perm_b32 v58, v18, v82, v17                              // 000000008D6C: D1ED003A 0446A512
	v_mov_b32_dpp v18, v83 quad_perm:[1,0,3,2] row_mask:0xf bank_mask:0xf// 000000008D74: 7E2402FA FF00B153
	v_perm_b32 v59, v18, v83, v17                              // 000000008D7C: D1ED003B 0446A712
	v_mov_b32_dpp v18, v84 quad_perm:[1,0,3,2] row_mask:0xf bank_mask:0xf// 000000008D84: 7E2402FA FF00B154
	v_perm_b32 v60, v18, v84, v17                              // 000000008D8C: D1ED003C 0446A912
	v_mfma_f32_16x16x16_f16 v[196:199], v[132:133], v[172:173], v[196:199]// 000000008D94: D3CD00C4 07135984
	ds_write_b32 v20, v58 offset:24320                         // 000000008D9C: D81A5F00 00003A14
	ds_write_b32 v20, v59 offset:24864                         // 000000008DA4: D81A6120 00003B14
	v_mfma_f32_16x16x16_f16 v[200:203], v[134:135], v[172:173], v[200:203]// 000000008DAC: D3CD00C8 07235986
	v_mov_b32_dpp v18, v85 quad_perm:[1,0,3,2] row_mask:0xf bank_mask:0xf// 000000008DB4: 7E2402FA FF00B155
	v_perm_b32 v61, v18, v85, v17                              // 000000008DBC: D1ED003D 0446AB12
	v_mov_b32_dpp v18, v86 quad_perm:[1,0,3,2] row_mask:0xf bank_mask:0xf// 000000008DC4: 7E2402FA FF00B156
	v_perm_b32 v62, v18, v86, v17                              // 000000008DCC: D1ED003E 0446AD12
	v_mov_b32_dpp v18, v87 quad_perm:[1,0,3,2] row_mask:0xf bank_mask:0xf// 000000008DD4: 7E2402FA FF00B157
	v_perm_b32 v63, v18, v87, v17                              // 000000008DDC: D1ED003F 0446AF12
	v_mfma_f32_16x16x16_f16 v[204:207], v[136:137], v[172:173], v[204:207]// 000000008DE4: D3CD00CC 07335988
	ds_write_b32 v20, v60 offset:26624                         // 000000008DEC: D81A6800 00003C14
	ds_write_b32 v20, v61 offset:27168                         // 000000008DF4: D81A6A20 00003D14
	ds_write_b32 v20, v62 offset:28928                         // 000000008DFC: D81A7100 00003E14
	ds_write_b32 v20, v63 offset:29472                         // 000000008E04: D81A7320 00003F14
	v_mfma_f32_16x16x16_f16 v[208:211], v[138:139], v[172:173], v[208:211]// 000000008E0C: D3CD00D0 0743598A
	v_mfma_f32_16x16x16_f16 v[212:215], v[132:133], v[174:175], v[212:215]// 000000008E14: D3CD00D4 07535D84
	ds_write_b32 v15, v100 offset:4352                         // 000000008E1C: D81A1100 0000640F
	ds_write_b32 v15, v101 offset:5408                         // 000000008E24: D81A1520 0000650F
	v_mfma_f32_16x16x16_f16 v[216:219], v[134:135], v[174:175], v[216:219]// 000000008E2C: D3CD00D8 07635D86
	v_mfma_f32_16x16x16_f16 v[220:223], v[136:137], v[174:175], v[220:223]// 000000008E34: D3CD00DC 07735D88
	ds_write_b32 v15, v102 offset:6528                         // 000000008E3C: D81A1980 0000660F
	ds_write_b32 v15, v103 offset:7584                         // 000000008E44: D81A1DA0 0000670F
	v_mfma_f32_16x16x16_f16 v[224:227], v[138:139], v[174:175], v[224:227]// 000000008E4C: D3CD00E0 07835D8A
	s_nop 0                                                    // 000000008E54: BF800000
	s_nop 0                                                    // 000000008E58: BF800000
	s_nop 0                                                    // 000000008E5C: BF800000
	s_barrier                                                  // 000000008E60: BF8A0000
	v_mfma_f32_16x16x16_f16 a[112:115], a[96:97], v[76:77], a[112:115]// 000000008E64: D3CD8070 0DC29960
	ds_read_b32 v140, v23 offset:35584                         // 000000008E6C: D86C8B00 8C000017
	ds_read_b32 v144, v23 offset:35648                         // 000000008E74: D86C8B40 90000017
	ds_read_b32 v176, v23 offset:35840                         // 000000008E7C: D86C8C00 B0000017
	ds_read_b32 v177, v23 offset:35904                         // 000000008E84: D86C8C40 B1000017
	v_mfma_f32_16x16x16_f16 a[116:119], a[98:99], v[76:77], a[116:119]// 000000008E8C: D3CD8074 0DD29962
	buffer_atomic_pk_add_f16 v156, v7, s[32:35], 0 idxen       // 000000008E94: E1382000 80089C07
	v_mfma_f32_16x16x16_f16 a[120:123], a[100:101], v[76:77], a[120:123]// 000000008E9C: D3CD8078 0DE29964
	s_waitcnt lgkmcnt(8)                                       // 000000008EA4: BF8CC87F
	s_barrier                                                  // 000000008EA8: BF8A0000
	v_mfma_f32_16x16x16_f16 a[124:127], a[102:103], v[76:77], a[124:127]// 000000008EAC: D3CD807C 0DF29966
	v_mfma_f32_16x16x16_f16 a[128:131], a[96:97], v[78:79], a[128:131]// 000000008EB4: D3CD8080 0E029D60
	ds_read_b128 v[52:55], v19 offset:17408                    // 000000008EBC: D9FE4400 34000013
	v_mfma_f32_16x16x16_f16 a[132:135], a[98:99], v[78:79], a[132:135]// 000000008EC4: D3CD8084 0E129D62
	v_mfma_f32_16x16x16_f16 a[136:139], a[100:101], v[78:79], a[136:139]// 000000008ECC: D3CD8088 0E229D64
	ds_read_b128 v[56:59], v19 offset:18560                    // 000000008ED4: D9FE4880 38000013
	v_mfma_f32_16x16x16_f16 a[140:143], a[102:103], v[78:79], a[140:143]// 000000008EDC: D3CD808C 0E329D66
	buffer_atomic_pk_add_f16 v157, v8, s[32:35], 0 idxen       // 000000008EE4: E1382000 80089D08
	v_mfma_f32_16x16x16_f16 a[144:147], a[96:97], v[80:81], a[144:147]// 000000008EEC: D3CD8090 0E42A160
	ds_read_b128 v[60:63], v19 offset:19712                    // 000000008EF4: D9FE4D00 3C000013
	v_mfma_f32_16x16x16_f16 a[148:151], a[98:99], v[80:81], a[148:151]// 000000008EFC: D3CD8094 0E52A162
	v_mfma_f32_16x16x16_f16 a[152:155], a[100:101], v[80:81], a[152:155]// 000000008F04: D3CD8098 0E62A164
	ds_read_b128 v[64:67], v19 offset:20864                    // 000000008F0C: D9FE5180 40000013
	v_mfma_f32_16x16x16_f16 a[156:159], a[102:103], v[80:81], a[156:159]// 000000008F14: D3CD809C 0E72A166
	v_mfma_f32_16x16x16_f16 a[112:115], a[104:105], v[82:83], a[112:115]// 000000008F1C: D3CD8070 0DC2A568
	ds_read_b128 v[68:71], v19 offset:22016                    // 000000008F24: D9FE5600 44000013
	v_mfma_f32_16x16x16_f16 a[116:119], a[106:107], v[82:83], a[116:119]// 000000008F2C: D3CD8074 0DD2A56A
	buffer_atomic_pk_add_f16 v158, v9, s[32:35], 0 idxen       // 000000008F34: E1382000 80089E09
	v_mfma_f32_16x16x16_f16 a[120:123], a[108:109], v[82:83], a[120:123]// 000000008F3C: D3CD8078 0DE2A56C
	ds_read_b128 v[72:75], v19 offset:23168                    // 000000008F44: D9FE5A80 48000013
	v_mfma_f32_16x16x16_f16 a[124:127], a[110:111], v[82:83], a[124:127]// 000000008F4C: D3CD807C 0DF2A56E
	v_mfma_f32_16x16x16_f16 a[128:131], a[104:105], v[84:85], a[128:131]// 000000008F54: D3CD8080 0E02A968
	ds_write_b32 v15, v104 offset:13056                        // 000000008F5C: D81A3300 0000680F
	v_mfma_f32_16x16x16_f16 a[132:135], a[106:107], v[84:85], a[132:135]// 000000008F64: D3CD8084 0E12A96A
	v_mfma_f32_16x16x16_f16 a[136:139], a[108:109], v[84:85], a[136:139]// 000000008F6C: D3CD8088 0E22A96C
	ds_write_b32 v15, v105 offset:14112                        // 000000008F74: D81A3720 0000690F
	v_mfma_f32_16x16x16_f16 a[140:143], a[110:111], v[84:85], a[140:143]// 000000008F7C: D3CD808C 0E32A96E
	buffer_atomic_pk_add_f16 v159, v10, s[32:35], 0 idxen      // 000000008F84: E1382000 80089F0A
	v_mfma_f32_16x16x16_f16 a[144:147], a[104:105], v[86:87], a[144:147]// 000000008F8C: D3CD8090 0E42AD68
	ds_write_b32 v15, v106 offset:15232                        // 000000008F94: D81A3B80 00006A0F
	v_mfma_f32_16x16x16_f16 a[148:151], a[106:107], v[86:87], a[148:151]// 000000008F9C: D3CD8094 0E52AD6A
	v_mfma_f32_16x16x16_f16 a[152:155], a[108:109], v[86:87], a[152:155]// 000000008FA4: D3CD8098 0E62AD6C
	ds_write_b32 v15, v107 offset:16288                        // 000000008FAC: D81A3FA0 00006B0F
	v_mfma_f32_16x16x16_f16 a[156:159], a[110:111], v[86:87], a[156:159]// 000000008FB4: D3CD809C 0E72AD6E
	s_waitcnt vmcnt(4) lgkmcnt(4)                              // 000000008FBC: BF8C0474
	s_barrier                                                  // 000000008FC0: BF8A0000
	v_mfma_f32_16x16x16_f16 v[148:151], a[24:25], v[52:53], 0  // 000000008FC4: D3CD0094 0A026918
	ds_read_b128 a[96:99], v12                                 // 000000008FCC: DBFE0000 6000000C
	buffer_load_dword v36, v1, s[8:11], 0 idxen                // 000000008FD4: E0502000 80022401
	v_mfma_f32_16x16x16_f16 v[148:151], a[28:29], v[54:55], v[148:151]// 000000008FDC: D3CD0094 0E526D1C
	v_mul_f32_e32 v140, s49, v140                              // 000000008FE4: 0B191831
	v_mul_f32_e32 v144, s49, v144                              // 000000008FE8: 0B212031
	s_nop 0                                                    // 000000008FEC: BF800000
	v_mfma_f32_16x16x16_f16 v[148:151], a[32:33], v[56:57], v[148:151]// 000000008FF0: D3CD0094 0E527120
	ds_read_b128 a[100:103], v12 offset:512                    // 000000008FF8: DBFE0200 6400000C
	buffer_load_dword v37, v2, s[8:11], 0 idxen                // 000000009000: E0502000 80022502
	v_mfma_f32_16x16x16_f16 v[148:151], a[36:37], v[58:59], v[148:151]// 000000009008: D3CD0094 0E527524
	v_mfma_f32_16x16x16_f16 v[148:151], a[40:41], v[60:61], v[148:151]// 000000009010: D3CD0094 0E527928
	ds_read_b128 a[104:107], v12 offset:2176                   // 000000009018: DBFE0880 6800000C
	buffer_load_dword v38, v3, s[8:11], 0 idxen                // 000000009020: E0502000 80022603
	v_mfma_f32_16x16x16_f16 v[148:151], a[44:45], v[62:63], v[148:151]// 000000009028: D3CD0094 0E527D2C
	v_perm_b32 v100, v41, v40, s63                             // 000000009030: D1ED0064 00FE5129
	v_perm_b32 v101, v41, v40, s64                             // 000000009038: D1ED0065 01025129
	v_mfma_f32_16x16x16_f16 v[148:151], a[48:49], v[64:65], v[148:151]// 000000009040: D3CD0094 0E528130
	ds_read_b128 a[108:111], v12 offset:2688                   // 000000009048: DBFE0A80 6C00000C
	buffer_load_dword v39, v4, s[8:11], 0 idxen                // 000000009050: E0502000 80022704
	v_mfma_f32_16x16x16_f16 v[148:151], a[52:53], v[66:67], v[148:151]// 000000009058: D3CD0094 0E528534
	v_perm_b32 v102, v43, v42, s63                             // 000000009060: D1ED0066 00FE552B
	v_perm_b32 v103, v43, v42, s64                             // 000000009068: D1ED0067 0102552B
	v_mfma_f32_16x16x16_f16 v[148:151], a[56:57], v[68:69], v[148:151]// 000000009070: D3CD0094 0E528938
	ds_read_b128 v[108:111], v12 offset:8704                   // 000000009078: D9FE2200 6C00000C
	buffer_load_dword v44, v1, s[20:23], 0 idxen               // 000000009080: E0502000 80052C01
	v_mfma_f32_16x16x16_f16 v[148:151], a[60:61], v[70:71], v[148:151]// 000000009088: D3CD0094 0E528D3C
	v_perm_b32 v104, v49, v48, s63                             // 000000009090: D1ED0068 00FE6131
	v_perm_b32 v105, v49, v48, s64                             // 000000009098: D1ED0069 01026131
	v_mfma_f32_16x16x16_f16 v[148:151], a[64:65], v[72:73], v[148:151]// 0000000090A0: D3CD0094 0E529140
	ds_read_b128 v[112:115], v12 offset:9216                   // 0000000090A8: D9FE2400 7000000C
	buffer_load_dword v45, v2, s[20:23], 0 idxen               // 0000000090B0: E0502000 80052D02
	v_mfma_f32_16x16x16_f16 v[148:151], a[68:69], v[74:75], v[148:151]// 0000000090B8: D3CD0094 0E529544
	v_perm_b32 v106, v51, v50, s63                             // 0000000090C0: D1ED006A 00FE6533
	v_perm_b32 v107, v51, v50, s64                             // 0000000090C8: D1ED006B 01026533
	v_mfma_f32_16x16x16_f16 v[152:155], a[26:27], v[52:53], 0  // 0000000090D0: D3CD0098 0A02691A
	ds_read_b128 v[116:119], v12 offset:10880                  // 0000000090D8: D9FE2A80 7400000C
	buffer_load_dword v46, v3, s[20:23], 0 idxen               // 0000000090E0: E0502000 80052E03
	v_mfma_f32_16x16x16_f16 v[152:155], a[30:31], v[54:55], v[152:155]// 0000000090E8: D3CD0098 0E626D1E
	v_mov_b32_dpp v143, v140 quad_perm:[3,3,3,3] row_mask:0xf bank_mask:0xf// 0000000090F0: 7F1E02FA FF00FF8C
	v_mov_b32_dpp v142, v140 quad_perm:[2,2,2,2] row_mask:0xf bank_mask:0xf// 0000000090F8: 7F1C02FA FF00AA8C
	v_mov_b32_dpp v141, v140 quad_perm:[1,1,1,1] row_mask:0xf bank_mask:0xf// 000000009100: 7F1A02FA FF00558C
	v_mov_b32_dpp v140, v140 quad_perm:[0,0,0,0] row_mask:0xf bank_mask:0xf// 000000009108: 7F1802FA FF00008C
	v_mfma_f32_16x16x16_f16 v[152:155], a[34:35], v[56:57], v[152:155]// 000000009110: D3CD0098 0E627122
	ds_read_b128 v[120:123], v12 offset:11392                  // 000000009118: D9FE2C80 7800000C
	buffer_load_dword v47, v4, s[20:23], 0 idxen               // 000000009120: E0502000 80052F04
	v_mfma_f32_16x16x16_f16 v[152:155], a[38:39], v[58:59], v[152:155]// 000000009128: D3CD0098 0E627526
	v_mov_b32_dpp v147, v144 quad_perm:[3,3,3,3] row_mask:0xf bank_mask:0xf// 000000009130: 7F2602FA FF00FF90
	v_mov_b32_dpp v146, v144 quad_perm:[2,2,2,2] row_mask:0xf bank_mask:0xf// 000000009138: 7F2402FA FF00AA90
	v_mov_b32_dpp v145, v144 quad_perm:[1,1,1,1] row_mask:0xf bank_mask:0xf// 000000009140: 7F2202FA FF005590
	v_mov_b32_dpp v144, v144 quad_perm:[0,0,0,0] row_mask:0xf bank_mask:0xf// 000000009148: 7F2002FA FF000090
	s_add_u32 s60, 0x80, s59                                   // 000000009150: 803C3BFF 00000080
	v_mfma_f32_16x16x16_f16 v[152:155], a[42:43], v[60:61], v[152:155]// 000000009158: D3CD0098 0E62792A
	buffer_load_dword v11, s[24:27], 0 idxen lds               // 000000009160: E0512000 8006000B
	v_mfma_f32_16x16x16_f16 v[152:155], a[46:47], v[62:63], v[152:155]// 000000009168: D3CD0098 0E627D2E
	s_cmp_lt_u32 s60, s58                                      // 000000009170: BF0A3A3C
	s_cselect_b32 s68, s68, 0                                  // 000000009174: 85448044
	s_cselect_b32 s69, s69, 0                                  // 000000009178: 85458045
	v_mfma_f32_16x16x16_f16 v[152:155], a[50:51], v[64:65], v[152:155]// 00000000917C: D3CD0098 0E628132
	s_add_u32 s8, s68, s8                                      // 000000009184: 80080844
	s_addc_u32 s9, 0, s9                                       // 000000009188: 82090980
	v_mfma_f32_16x16x16_f16 v[152:155], a[54:55], v[66:67], v[152:155]// 00000000918C: D3CD0098 0E628536
	s_add_u32 s20, s68, s20                                    // 000000009194: 80141444
	s_addc_u32 s21, 0, s21                                     // 000000009198: 82151580
	v_mfma_f32_16x16x16_f16 v[152:155], a[58:59], v[68:69], v[152:155]// 00000000919C: D3CD0098 0E62893A
	s_mov_b32 m0, s79                                          // 0000000091A4: BEFC004F
	v_add_u32_e32 v11, s69, v11                                // 0000000091A8: 68161645
	v_mfma_f32_16x16x16_f16 v[152:155], a[62:63], v[70:71], v[152:155]// 0000000091AC: D3CD0098 0E628D3E
	s_cmp_ge_u32 s59, s73                                      // 0000000091B4: BF09493B
	s_cselect_b32 s66, s67, s66                                // 0000000091B8: 85424243
	v_mfma_f32_16x16x16_f16 v[152:155], a[66:67], v[72:73], v[152:155]// 0000000091BC: D3CD0098 0E629142
	s_addk_i32 s59, 0x20                                       // 0000000091C4: B73B0020
	s_nop 0                                                    // 0000000091C8: BF800000
	s_cmp_lt_i32 s59, s58                                      // 0000000091CC: BF043A3B
	v_mfma_f32_16x16x16_f16 v[152:155], a[70:71], v[74:75], v[152:155]// 0000000091D0: D3CD0098 0E629546
	s_cbranch_scc0 label_0D16                                  // 0000000091D8: BF84F89F
	s_branch label_0D19                                        // 0000000091DC: BF82F8A1

00000000000091e0 <label_1478>:
	s_add_u32 s32, s66, s32                                    // 0000000091E0: 80202042
	s_addc_u32 s33, 0, s33                                     // 0000000091E4: 82212180
	v_lshrrev_b32_e32 v32, 5, v0                               // 0000000091E8: 20400085
	v_mul_i32_i24_e32 v27, 0x44, v32                           // 0000000091EC: 0C3640FF 00000044
	v_and_b32_e32 v32, 31, v0                                  // 0000000091F4: 2640009F
	v_mul_i32_i24_e32 v33, 2, v32                              // 0000000091F8: 0C424082
	v_add_u32_e32 v27, v33, v27                                // 0000000091FC: 68363721
	s_mul_i32 s60, s47, 0x220                                  // 000000009200: 923CFF2F 00000220
	v_add_u32_e32 v27, s60, v27                                // 000000009208: 6836363C
	v_lshlrev_b32_e32 v27, 2, v27                              // 00000000920C: 24363682
	v_mul_f32_e32 v148, s48, v148                              // 000000009210: 0B292830
	v_mul_f32_e32 v149, s48, v149                              // 000000009214: 0B2B2A30
	v_mul_f32_e32 v150, s48, v150                              // 000000009218: 0B2D2C30
	v_mul_f32_e32 v151, s48, v151                              // 00000000921C: 0B2F2E30
	v_mul_f32_e32 v152, s48, v152                              // 000000009220: 0B313030
	v_mul_f32_e32 v153, s48, v153                              // 000000009224: 0B333230
	v_mul_f32_e32 v154, s48, v154                              // 000000009228: 0B353430
	v_mul_f32_e32 v155, s48, v155                              // 00000000922C: 0B373630
	v_cvt_pkrtz_f16_f32 v148, v148, v149                       // 000000009230: D2960094 00032B94
	v_cvt_pkrtz_f16_f32 v149, v150, v151                       // 000000009238: D2960095 00032F96
	v_cvt_pkrtz_f16_f32 v150, v152, v153                       // 000000009240: D2960096 00033398
	v_cvt_pkrtz_f16_f32 v151, v154, v155                       // 000000009248: D2960097 0003379A
	ds_write_b64 v22, v[148:149] offset:31232                  // 000000009250: D89A7A00 00009416
	ds_write_b64 v22, v[150:151] offset:31776                  // 000000009258: D89A7C20 00009616
	s_waitcnt lgkmcnt(0)                                       // 000000009260: BF8CC07F
	s_barrier                                                  // 000000009264: BF8A0000
	ds_read_b32 v156, v21 offset:31232                         // 000000009268: D86C7A00 9C000015
	ds_read_b32 v157, v21 offset:31248                         // 000000009270: D86C7A10 9D000015
	ds_read_b32 v158, v21 offset:31264                         // 000000009278: D86C7A20 9E000015
	ds_read_b32 v159, v21 offset:31280                         // 000000009280: D86C7A30 9F000015
	s_waitcnt lgkmcnt(0)                                       // 000000009288: BF8CC07F
	s_barrier                                                  // 00000000928C: BF8A0000
	buffer_atomic_pk_add_f16 v156, v7, s[32:35], 0 idxen       // 000000009290: E1382000 80089C07
	buffer_atomic_pk_add_f16 v157, v8, s[32:35], 0 idxen       // 000000009298: E1382000 80089D08
	buffer_atomic_pk_add_f16 v158, v9, s[32:35], 0 idxen       // 0000000092A0: E1382000 80089E09
	buffer_atomic_pk_add_f16 v159, v10, s[32:35], 0 idxen      // 0000000092A8: E1382000 80089F0A
	v_lshrrev_b32_e32 v32, 3, v0                               // 0000000092B0: 20400083
	v_mul_i32_i24_e32 v26, 2, v32                              // 0000000092B4: 0C344082
	v_and_b32_e32 v32, 7, v0                                   // 0000000092B8: 26400087
	v_mul_i32_i24_e32 v33, 0x44, v32                           // 0000000092BC: 0C4240FF 00000044
	v_add_u32_e32 v26, v33, v26                                // 0000000092C4: 68343521
	s_mul_i32 s60, s47, 0x220                                  // 0000000092C8: 923CFF2F 00000220
	v_add_u32_e32 v26, s60, v26                                // 0000000092D0: 6834343C
	v_lshlrev_b32_e32 v26, 2, v26                              // 0000000092D4: 24343482
	v_accvgpr_read_b32 v32, a112                               // 0000000092D8: D3D84020 18000170
	v_accvgpr_read_b32 v33, a113                               // 0000000092E0: D3D84021 18000171
	v_mul_f32_e32 v32, s48, v32                                // 0000000092E8: 0A404030
	v_mul_f32_e32 v33, s48, v33                                // 0000000092EC: 0A424230
	v_cvt_pkrtz_f16_f32 v52, v32, v33                          // 0000000092F0: D2960034 00024320
	v_accvgpr_read_b32 v32, a114                               // 0000000092F8: D3D84020 18000172
	v_accvgpr_read_b32 v33, a115                               // 000000009300: D3D84021 18000173
	v_mul_f32_e32 v32, s48, v32                                // 000000009308: 0A404030
	v_mul_f32_e32 v33, s48, v33                                // 00000000930C: 0A424230
	v_cvt_pkrtz_f16_f32 v53, v32, v33                          // 000000009310: D2960035 00024320
	v_accvgpr_read_b32 v32, a116                               // 000000009318: D3D84020 18000174
	v_accvgpr_read_b32 v33, a117                               // 000000009320: D3D84021 18000175
	v_mul_f32_e32 v32, s48, v32                                // 000000009328: 0A404030
	v_mul_f32_e32 v33, s48, v33                                // 00000000932C: 0A424230
	v_cvt_pkrtz_f16_f32 v54, v32, v33                          // 000000009330: D2960036 00024320
	v_accvgpr_read_b32 v32, a118                               // 000000009338: D3D84020 18000176
	v_accvgpr_read_b32 v33, a119                               // 000000009340: D3D84021 18000177
	v_mul_f32_e32 v32, s48, v32                                // 000000009348: 0A404030
	v_mul_f32_e32 v33, s48, v33                                // 00000000934C: 0A424230
	v_cvt_pkrtz_f16_f32 v55, v32, v33                          // 000000009350: D2960037 00024320
	v_accvgpr_read_b32 v32, a120                               // 000000009358: D3D84020 18000178
	v_accvgpr_read_b32 v33, a121                               // 000000009360: D3D84021 18000179
	v_mul_f32_e32 v32, s48, v32                                // 000000009368: 0A404030
	v_mul_f32_e32 v33, s48, v33                                // 00000000936C: 0A424230
	v_cvt_pkrtz_f16_f32 v56, v32, v33                          // 000000009370: D2960038 00024320
	v_accvgpr_read_b32 v32, a122                               // 000000009378: D3D84020 1800017A
	v_accvgpr_read_b32 v33, a123                               // 000000009380: D3D84021 1800017B
	v_mul_f32_e32 v32, s48, v32                                // 000000009388: 0A404030
	v_mul_f32_e32 v33, s48, v33                                // 00000000938C: 0A424230
	v_cvt_pkrtz_f16_f32 v57, v32, v33                          // 000000009390: D2960039 00024320
	v_accvgpr_read_b32 v32, a124                               // 000000009398: D3D84020 1800017C
	v_accvgpr_read_b32 v33, a125                               // 0000000093A0: D3D84021 1800017D
	v_mul_f32_e32 v32, s48, v32                                // 0000000093A8: 0A404030
	v_mul_f32_e32 v33, s48, v33                                // 0000000093AC: 0A424230
	v_cvt_pkrtz_f16_f32 v58, v32, v33                          // 0000000093B0: D296003A 00024320
	v_accvgpr_read_b32 v32, a126                               // 0000000093B8: D3D84020 1800017E
	v_accvgpr_read_b32 v33, a127                               // 0000000093C0: D3D84021 1800017F
	v_mul_f32_e32 v32, s48, v32                                // 0000000093C8: 0A404030
	v_mul_f32_e32 v33, s48, v33                                // 0000000093CC: 0A424230
	v_cvt_pkrtz_f16_f32 v59, v32, v33                          // 0000000093D0: D296003B 00024320
	ds_write_b64 v27, v[52:53]                                 // 0000000093D8: D89A0000 0000341B
	ds_write_b64 v27, v[54:55] offset:544                      // 0000000093E0: D89A0220 0000361B
	ds_write_b64 v27, v[56:57] offset:1088                     // 0000000093E8: D89A0440 0000381B
	ds_write_b64 v27, v[58:59] offset:1632                     // 0000000093F0: D89A0660 00003A1B
	s_waitcnt lgkmcnt(0)                                       // 0000000093F8: BF8CC07F
	s_barrier                                                  // 0000000093FC: BF8A0000
	ds_read_b64 v[52:53], v26                                  // 000000009400: D8EC0000 3400001A
	ds_read_b64 v[54:55], v26 offset:128                       // 000000009408: D8EC0080 3600001A
	ds_read_b64 v[56:57], v26 offset:64                        // 000000009410: D8EC0040 3800001A
	ds_read_b64 v[58:59], v26 offset:192                       // 000000009418: D8EC00C0 3A00001A
	s_waitcnt lgkmcnt(0)                                       // 000000009420: BF8CC07F
	buffer_store_dwordx4 v[52:55], v5, s[36:39], 0 idxen       // 000000009424: E07C2000 80093405
	s_mul_i32 s60, 2, s46                                      // 00000000942C: 923C2E82
	v_add_u32_e32 v5, s60, v5                                  // 000000009430: 680A0A3C
	buffer_store_dwordx4 v[56:59], v5, s[36:39], 0 idxen       // 000000009434: E07C2000 80093805
	s_mul_i32 s60, 2, s46                                      // 00000000943C: 923C2E82
	v_add_u32_e32 v5, s60, v5                                  // 000000009440: 680A0A3C
	s_mul_i32 s60, 12, s46                                     // 000000009444: 923C2E8C
	v_add_u32_e32 v5, s60, v5                                  // 000000009448: 680A0A3C
	s_barrier                                                  // 00000000944C: BF8A0000
	s_cmp_ge_i32 1, s72                                        // 000000009450: BF034881
	s_cbranch_scc1 label_15D6                                  // 000000009454: BF8500C0
	v_accvgpr_read_b32 v32, a128                               // 000000009458: D3D84020 18000180
	v_accvgpr_read_b32 v33, a129                               // 000000009460: D3D84021 18000181
	v_mul_f32_e32 v32, s48, v32                                // 000000009468: 0A404030
	v_mul_f32_e32 v33, s48, v33                                // 00000000946C: 0A424230
	v_cvt_pkrtz_f16_f32 v60, v32, v33                          // 000000009470: D296003C 00024320
	v_accvgpr_read_b32 v32, a130                               // 000000009478: D3D84020 18000182
	v_accvgpr_read_b32 v33, a131                               // 000000009480: D3D84021 18000183
	v_mul_f32_e32 v32, s48, v32                                // 000000009488: 0A404030
	v_mul_f32_e32 v33, s48, v33                                // 00000000948C: 0A424230
	v_cvt_pkrtz_f16_f32 v61, v32, v33                          // 000000009490: D296003D 00024320
	v_accvgpr_read_b32 v32, a132                               // 000000009498: D3D84020 18000184
	v_accvgpr_read_b32 v33, a133                               // 0000000094A0: D3D84021 18000185
	v_mul_f32_e32 v32, s48, v32                                // 0000000094A8: 0A404030
	v_mul_f32_e32 v33, s48, v33                                // 0000000094AC: 0A424230
	v_cvt_pkrtz_f16_f32 v62, v32, v33                          // 0000000094B0: D296003E 00024320
	v_accvgpr_read_b32 v32, a134                               // 0000000094B8: D3D84020 18000186
	v_accvgpr_read_b32 v33, a135                               // 0000000094C0: D3D84021 18000187
	v_mul_f32_e32 v32, s48, v32                                // 0000000094C8: 0A404030
	v_mul_f32_e32 v33, s48, v33                                // 0000000094CC: 0A424230
	v_cvt_pkrtz_f16_f32 v63, v32, v33                          // 0000000094D0: D296003F 00024320
	v_accvgpr_read_b32 v32, a136                               // 0000000094D8: D3D84020 18000188
	v_accvgpr_read_b32 v33, a137                               // 0000000094E0: D3D84021 18000189
	v_mul_f32_e32 v32, s48, v32                                // 0000000094E8: 0A404030
	v_mul_f32_e32 v33, s48, v33                                // 0000000094EC: 0A424230
	v_cvt_pkrtz_f16_f32 v64, v32, v33                          // 0000000094F0: D2960040 00024320
	v_accvgpr_read_b32 v32, a138                               // 0000000094F8: D3D84020 1800018A
	v_accvgpr_read_b32 v33, a139                               // 000000009500: D3D84021 1800018B
	v_mul_f32_e32 v32, s48, v32                                // 000000009508: 0A404030
	v_mul_f32_e32 v33, s48, v33                                // 00000000950C: 0A424230
	v_cvt_pkrtz_f16_f32 v65, v32, v33                          // 000000009510: D2960041 00024320
	v_accvgpr_read_b32 v32, a140                               // 000000009518: D3D84020 1800018C
	v_accvgpr_read_b32 v33, a141                               // 000000009520: D3D84021 1800018D
	v_mul_f32_e32 v32, s48, v32                                // 000000009528: 0A404030
	v_mul_f32_e32 v33, s48, v33                                // 00000000952C: 0A424230
	v_cvt_pkrtz_f16_f32 v66, v32, v33                          // 000000009530: D2960042 00024320
	v_accvgpr_read_b32 v32, a142                               // 000000009538: D3D84020 1800018E
	v_accvgpr_read_b32 v33, a143                               // 000000009540: D3D84021 1800018F
	v_mul_f32_e32 v32, s48, v32                                // 000000009548: 0A404030
	v_mul_f32_e32 v33, s48, v33                                // 00000000954C: 0A424230
	v_cvt_pkrtz_f16_f32 v67, v32, v33                          // 000000009550: D2960043 00024320
	ds_write_b64 v27, v[60:61] offset:8704                     // 000000009558: D89A2200 00003C1B
	ds_write_b64 v27, v[62:63] offset:9248                     // 000000009560: D89A2420 00003E1B
	ds_write_b64 v27, v[64:65] offset:9792                     // 000000009568: D89A2640 0000401B
	ds_write_b64 v27, v[66:67] offset:10336                    // 000000009570: D89A2860 0000421B
	s_waitcnt lgkmcnt(0)                                       // 000000009578: BF8CC07F
	s_barrier                                                  // 00000000957C: BF8A0000
	ds_read_b64 v[60:61], v26 offset:8704                      // 000000009580: D8EC2200 3C00001A
	ds_read_b64 v[62:63], v26 offset:8832                      // 000000009588: D8EC2280 3E00001A
	ds_read_b64 v[64:65], v26 offset:8768                      // 000000009590: D8EC2240 4000001A
	ds_read_b64 v[66:67], v26 offset:8896                      // 000000009598: D8EC22C0 4200001A
	s_waitcnt lgkmcnt(0)                                       // 0000000095A0: BF8CC07F
	buffer_store_dwordx4 v[60:63], v5, s[36:39], 0 idxen       // 0000000095A4: E07C2000 80093C05
	s_mul_i32 s60, 2, s46                                      // 0000000095AC: 923C2E82
	v_add_u32_e32 v5, s60, v5                                  // 0000000095B0: 680A0A3C
	buffer_store_dwordx4 v[64:67], v5, s[36:39], 0 idxen       // 0000000095B4: E07C2000 80094005
	s_mul_i32 s60, 2, s46                                      // 0000000095BC: 923C2E82
	v_add_u32_e32 v5, s60, v5                                  // 0000000095C0: 680A0A3C
	s_mul_i32 s60, 12, s46                                     // 0000000095C4: 923C2E8C
	v_add_u32_e32 v5, s60, v5                                  // 0000000095C8: 680A0A3C
	s_barrier                                                  // 0000000095CC: BF8A0000
	s_cmp_ge_i32 2, s72                                        // 0000000095D0: BF034882
	s_cbranch_scc1 label_15D6                                  // 0000000095D4: BF850060
	v_accvgpr_read_b32 v32, a144                               // 0000000095D8: D3D84020 18000190
	v_accvgpr_read_b32 v33, a145                               // 0000000095E0: D3D84021 18000191
	v_mul_f32_e32 v32, s48, v32                                // 0000000095E8: 0A404030
	v_mul_f32_e32 v33, s48, v33                                // 0000000095EC: 0A424230
	v_cvt_pkrtz_f16_f32 v68, v32, v33                          // 0000000095F0: D2960044 00024320
	v_accvgpr_read_b32 v32, a146                               // 0000000095F8: D3D84020 18000192
	v_accvgpr_read_b32 v33, a147                               // 000000009600: D3D84021 18000193
	v_mul_f32_e32 v32, s48, v32                                // 000000009608: 0A404030
	v_mul_f32_e32 v33, s48, v33                                // 00000000960C: 0A424230
	v_cvt_pkrtz_f16_f32 v69, v32, v33                          // 000000009610: D2960045 00024320
	v_accvgpr_read_b32 v32, a148                               // 000000009618: D3D84020 18000194
	v_accvgpr_read_b32 v33, a149                               // 000000009620: D3D84021 18000195
	v_mul_f32_e32 v32, s48, v32                                // 000000009628: 0A404030
	v_mul_f32_e32 v33, s48, v33                                // 00000000962C: 0A424230
	v_cvt_pkrtz_f16_f32 v70, v32, v33                          // 000000009630: D2960046 00024320
	v_accvgpr_read_b32 v32, a150                               // 000000009638: D3D84020 18000196
	v_accvgpr_read_b32 v33, a151                               // 000000009640: D3D84021 18000197
	v_mul_f32_e32 v32, s48, v32                                // 000000009648: 0A404030
	v_mul_f32_e32 v33, s48, v33                                // 00000000964C: 0A424230
	v_cvt_pkrtz_f16_f32 v71, v32, v33                          // 000000009650: D2960047 00024320
	v_accvgpr_read_b32 v32, a152                               // 000000009658: D3D84020 18000198
	v_accvgpr_read_b32 v33, a153                               // 000000009660: D3D84021 18000199
	v_mul_f32_e32 v32, s48, v32                                // 000000009668: 0A404030
	v_mul_f32_e32 v33, s48, v33                                // 00000000966C: 0A424230
	v_cvt_pkrtz_f16_f32 v72, v32, v33                          // 000000009670: D2960048 00024320
	v_accvgpr_read_b32 v32, a154                               // 000000009678: D3D84020 1800019A
	v_accvgpr_read_b32 v33, a155                               // 000000009680: D3D84021 1800019B
	v_mul_f32_e32 v32, s48, v32                                // 000000009688: 0A404030
	v_mul_f32_e32 v33, s48, v33                                // 00000000968C: 0A424230
	v_cvt_pkrtz_f16_f32 v73, v32, v33                          // 000000009690: D2960049 00024320
	v_accvgpr_read_b32 v32, a156                               // 000000009698: D3D84020 1800019C
	v_accvgpr_read_b32 v33, a157                               // 0000000096A0: D3D84021 1800019D
	v_mul_f32_e32 v32, s48, v32                                // 0000000096A8: 0A404030
	v_mul_f32_e32 v33, s48, v33                                // 0000000096AC: 0A424230
	v_cvt_pkrtz_f16_f32 v74, v32, v33                          // 0000000096B0: D296004A 00024320
	v_accvgpr_read_b32 v32, a158                               // 0000000096B8: D3D84020 1800019E
	v_accvgpr_read_b32 v33, a159                               // 0000000096C0: D3D84021 1800019F
	v_mul_f32_e32 v32, s48, v32                                // 0000000096C8: 0A404030
	v_mul_f32_e32 v33, s48, v33                                // 0000000096CC: 0A424230
	v_cvt_pkrtz_f16_f32 v75, v32, v33                          // 0000000096D0: D296004B 00024320
	ds_write_b64 v27, v[68:69] offset:17408                    // 0000000096D8: D89A4400 0000441B
	ds_write_b64 v27, v[70:71] offset:17952                    // 0000000096E0: D89A4620 0000461B
	ds_write_b64 v27, v[72:73] offset:18496                    // 0000000096E8: D89A4840 0000481B
	ds_write_b64 v27, v[74:75] offset:19040                    // 0000000096F0: D89A4A60 00004A1B
	s_waitcnt lgkmcnt(0)                                       // 0000000096F8: BF8CC07F
	s_barrier                                                  // 0000000096FC: BF8A0000
	ds_read_b64 v[68:69], v26 offset:17408                     // 000000009700: D8EC4400 4400001A
	ds_read_b64 v[70:71], v26 offset:17536                     // 000000009708: D8EC4480 4600001A
	ds_read_b64 v[72:73], v26 offset:17472                     // 000000009710: D8EC4440 4800001A
	ds_read_b64 v[74:75], v26 offset:17600                     // 000000009718: D8EC44C0 4A00001A
	s_waitcnt lgkmcnt(0)                                       // 000000009720: BF8CC07F
	buffer_store_dwordx4 v[68:71], v5, s[36:39], 0 idxen       // 000000009724: E07C2000 80094405
	s_mul_i32 s60, 2, s46                                      // 00000000972C: 923C2E82
	v_add_u32_e32 v5, s60, v5                                  // 000000009730: 680A0A3C
	buffer_store_dwordx4 v[72:75], v5, s[36:39], 0 idxen       // 000000009734: E07C2000 80094805
	s_mul_i32 s60, 2, s46                                      // 00000000973C: 923C2E82
	v_add_u32_e32 v5, s60, v5                                  // 000000009740: 680A0A3C
	s_mul_i32 s60, 12, s46                                     // 000000009744: 923C2E8C
	v_add_u32_e32 v5, s60, v5                                  // 000000009748: 680A0A3C
	s_barrier                                                  // 00000000974C: BF8A0000
	s_cmp_ge_i32 3, s72                                        // 000000009750: BF034883
	s_cbranch_scc1 label_15D6                                  // 000000009754: BF850000

0000000000009758 <label_15D6>:
	v_mov_b32_e32 v32, v180                                    // 000000009758: 7E4003B4
	v_mov_b32_e32 v33, v181                                    // 00000000975C: 7E4203B5
	v_cvt_pkrtz_f16_f32 v180, v32, v33                         // 000000009760: D29600B4 00024320
	v_mov_b32_e32 v32, v182                                    // 000000009768: 7E4003B6
	v_mov_b32_e32 v33, v183                                    // 00000000976C: 7E4203B7
	v_cvt_pkrtz_f16_f32 v181, v32, v33                         // 000000009770: D29600B5 00024320
	v_mov_b32_e32 v32, v184                                    // 000000009778: 7E4003B8
	v_mov_b32_e32 v33, v185                                    // 00000000977C: 7E4203B9
	v_cvt_pkrtz_f16_f32 v182, v32, v33                         // 000000009780: D29600B6 00024320
	v_mov_b32_e32 v32, v186                                    // 000000009788: 7E4003BA
	v_mov_b32_e32 v33, v187                                    // 00000000978C: 7E4203BB
	v_cvt_pkrtz_f16_f32 v183, v32, v33                         // 000000009790: D29600B7 00024320
	v_mov_b32_e32 v32, v188                                    // 000000009798: 7E4003BC
	v_mov_b32_e32 v33, v189                                    // 00000000979C: 7E4203BD
	v_cvt_pkrtz_f16_f32 v184, v32, v33                         // 0000000097A0: D29600B8 00024320
	v_mov_b32_e32 v32, v190                                    // 0000000097A8: 7E4003BE
	v_mov_b32_e32 v33, v191                                    // 0000000097AC: 7E4203BF
	v_cvt_pkrtz_f16_f32 v185, v32, v33                         // 0000000097B0: D29600B9 00024320
	v_mov_b32_e32 v32, v192                                    // 0000000097B8: 7E4003C0
	v_mov_b32_e32 v33, v193                                    // 0000000097BC: 7E4203C1
	v_cvt_pkrtz_f16_f32 v186, v32, v33                         // 0000000097C0: D29600BA 00024320
	v_mov_b32_e32 v32, v194                                    // 0000000097C8: 7E4003C2
	v_mov_b32_e32 v33, v195                                    // 0000000097CC: 7E4203C3
	v_cvt_pkrtz_f16_f32 v187, v32, v33                         // 0000000097D0: D29600BB 00024320
	ds_write_b64 v27, v[180:181]                               // 0000000097D8: D89A0000 0000B41B
	ds_write_b64 v27, v[182:183] offset:544                    // 0000000097E0: D89A0220 0000B61B
	ds_write_b64 v27, v[184:185] offset:1088                   // 0000000097E8: D89A0440 0000B81B
	ds_write_b64 v27, v[186:187] offset:1632                   // 0000000097F0: D89A0660 0000BA1B
	s_waitcnt lgkmcnt(0)                                       // 0000000097F8: BF8CC07F
	s_barrier                                                  // 0000000097FC: BF8A0000
	ds_read_b64 v[180:181], v26                                // 000000009800: D8EC0000 B400001A
	ds_read_b64 v[182:183], v26 offset:128                     // 000000009808: D8EC0080 B600001A
	ds_read_b64 v[184:185], v26 offset:64                      // 000000009810: D8EC0040 B800001A
	ds_read_b64 v[186:187], v26 offset:192                     // 000000009818: D8EC00C0 BA00001A
	s_waitcnt lgkmcnt(0)                                       // 000000009820: BF8CC07F
	buffer_store_dwordx4 v[180:183], v6, s[40:43], 0 idxen     // 000000009824: E07C2000 800AB406
	s_mul_i32 s60, 2, s46                                      // 00000000982C: 923C2E82
	v_add_u32_e32 v6, s60, v6                                  // 000000009830: 680C0C3C
	buffer_store_dwordx4 v[184:187], v6, s[40:43], 0 idxen     // 000000009834: E07C2000 800AB806
	s_mul_i32 s60, 2, s46                                      // 00000000983C: 923C2E82
	v_add_u32_e32 v6, s60, v6                                  // 000000009840: 680C0C3C
	s_mul_i32 s60, 12, s46                                     // 000000009844: 923C2E8C
	v_add_u32_e32 v6, s60, v6                                  // 000000009848: 680C0C3C
	s_cmp_ge_i32 1, s72                                        // 00000000984C: BF034881
	s_cbranch_scc1 label_1693                                  // 000000009850: BF85007E
	v_mov_b32_e32 v32, v196                                    // 000000009854: 7E4003C4
	v_mov_b32_e32 v33, v197                                    // 000000009858: 7E4203C5
	v_cvt_pkrtz_f16_f32 v188, v32, v33                         // 00000000985C: D29600BC 00024320
	v_mov_b32_e32 v32, v198                                    // 000000009864: 7E4003C6
	v_mov_b32_e32 v33, v199                                    // 000000009868: 7E4203C7
	v_cvt_pkrtz_f16_f32 v189, v32, v33                         // 00000000986C: D29600BD 00024320
	v_mov_b32_e32 v32, v200                                    // 000000009874: 7E4003C8
	v_mov_b32_e32 v33, v201                                    // 000000009878: 7E4203C9
	v_cvt_pkrtz_f16_f32 v190, v32, v33                         // 00000000987C: D29600BE 00024320
	v_mov_b32_e32 v32, v202                                    // 000000009884: 7E4003CA
	v_mov_b32_e32 v33, v203                                    // 000000009888: 7E4203CB
	v_cvt_pkrtz_f16_f32 v191, v32, v33                         // 00000000988C: D29600BF 00024320
	v_mov_b32_e32 v32, v204                                    // 000000009894: 7E4003CC
	v_mov_b32_e32 v33, v205                                    // 000000009898: 7E4203CD
	v_cvt_pkrtz_f16_f32 v192, v32, v33                         // 00000000989C: D29600C0 00024320
	v_mov_b32_e32 v32, v206                                    // 0000000098A4: 7E4003CE
	v_mov_b32_e32 v33, v207                                    // 0000000098A8: 7E4203CF
	v_cvt_pkrtz_f16_f32 v193, v32, v33                         // 0000000098AC: D29600C1 00024320
	v_mov_b32_e32 v32, v208                                    // 0000000098B4: 7E4003D0
	v_mov_b32_e32 v33, v209                                    // 0000000098B8: 7E4203D1
	v_cvt_pkrtz_f16_f32 v194, v32, v33                         // 0000000098BC: D29600C2 00024320
	v_mov_b32_e32 v32, v210                                    // 0000000098C4: 7E4003D2
	v_mov_b32_e32 v33, v211                                    // 0000000098C8: 7E4203D3
	v_cvt_pkrtz_f16_f32 v195, v32, v33                         // 0000000098CC: D29600C3 00024320
	ds_write_b64 v27, v[188:189] offset:8704                   // 0000000098D4: D89A2200 0000BC1B
	ds_write_b64 v27, v[190:191] offset:9248                   // 0000000098DC: D89A2420 0000BE1B
	ds_write_b64 v27, v[192:193] offset:9792                   // 0000000098E4: D89A2640 0000C01B
	ds_write_b64 v27, v[194:195] offset:10336                  // 0000000098EC: D89A2860 0000C21B
	s_waitcnt lgkmcnt(0)                                       // 0000000098F4: BF8CC07F
	s_barrier                                                  // 0000000098F8: BF8A0000
	ds_read_b64 v[188:189], v26 offset:8704                    // 0000000098FC: D8EC2200 BC00001A
	ds_read_b64 v[190:191], v26 offset:8832                    // 000000009904: D8EC2280 BE00001A
	ds_read_b64 v[192:193], v26 offset:8768                    // 00000000990C: D8EC2240 C000001A
	ds_read_b64 v[194:195], v26 offset:8896                    // 000000009914: D8EC22C0 C200001A
	s_waitcnt lgkmcnt(0)                                       // 00000000991C: BF8CC07F
	buffer_store_dwordx4 v[188:191], v6, s[40:43], 0 idxen     // 000000009920: E07C2000 800ABC06
	s_mul_i32 s60, 2, s46                                      // 000000009928: 923C2E82
	v_add_u32_e32 v6, s60, v6                                  // 00000000992C: 680C0C3C
	buffer_store_dwordx4 v[192:195], v6, s[40:43], 0 idxen     // 000000009930: E07C2000 800AC006
	s_mul_i32 s60, 2, s46                                      // 000000009938: 923C2E82
	v_add_u32_e32 v6, s60, v6                                  // 00000000993C: 680C0C3C
	s_mul_i32 s60, 12, s46                                     // 000000009940: 923C2E8C
	v_add_u32_e32 v6, s60, v6                                  // 000000009944: 680C0C3C
	s_cmp_ge_i32 2, s72                                        // 000000009948: BF034882
	s_cbranch_scc1 label_1693                                  // 00000000994C: BF85003F
	v_mov_b32_e32 v32, v212                                    // 000000009950: 7E4003D4
	v_mov_b32_e32 v33, v213                                    // 000000009954: 7E4203D5
	v_cvt_pkrtz_f16_f32 v196, v32, v33                         // 000000009958: D29600C4 00024320
	v_mov_b32_e32 v32, v214                                    // 000000009960: 7E4003D6
	v_mov_b32_e32 v33, v215                                    // 000000009964: 7E4203D7
	v_cvt_pkrtz_f16_f32 v197, v32, v33                         // 000000009968: D29600C5 00024320
	v_mov_b32_e32 v32, v216                                    // 000000009970: 7E4003D8
	v_mov_b32_e32 v33, v217                                    // 000000009974: 7E4203D9
	v_cvt_pkrtz_f16_f32 v198, v32, v33                         // 000000009978: D29600C6 00024320
	v_mov_b32_e32 v32, v218                                    // 000000009980: 7E4003DA
	v_mov_b32_e32 v33, v219                                    // 000000009984: 7E4203DB
	v_cvt_pkrtz_f16_f32 v199, v32, v33                         // 000000009988: D29600C7 00024320
	v_mov_b32_e32 v32, v220                                    // 000000009990: 7E4003DC
	v_mov_b32_e32 v33, v221                                    // 000000009994: 7E4203DD
	v_cvt_pkrtz_f16_f32 v200, v32, v33                         // 000000009998: D29600C8 00024320
	v_mov_b32_e32 v32, v222                                    // 0000000099A0: 7E4003DE
	v_mov_b32_e32 v33, v223                                    // 0000000099A4: 7E4203DF
	v_cvt_pkrtz_f16_f32 v201, v32, v33                         // 0000000099A8: D29600C9 00024320
	v_mov_b32_e32 v32, v224                                    // 0000000099B0: 7E4003E0
	v_mov_b32_e32 v33, v225                                    // 0000000099B4: 7E4203E1
	v_cvt_pkrtz_f16_f32 v202, v32, v33                         // 0000000099B8: D29600CA 00024320
	v_mov_b32_e32 v32, v226                                    // 0000000099C0: 7E4003E2
	v_mov_b32_e32 v33, v227                                    // 0000000099C4: 7E4203E3
	v_cvt_pkrtz_f16_f32 v203, v32, v33                         // 0000000099C8: D29600CB 00024320
	ds_write_b64 v27, v[196:197] offset:17408                  // 0000000099D0: D89A4400 0000C41B
	ds_write_b64 v27, v[198:199] offset:17952                  // 0000000099D8: D89A4620 0000C61B
	ds_write_b64 v27, v[200:201] offset:18496                  // 0000000099E0: D89A4840 0000C81B
	ds_write_b64 v27, v[202:203] offset:19040                  // 0000000099E8: D89A4A60 0000CA1B
	s_waitcnt lgkmcnt(0)                                       // 0000000099F0: BF8CC07F
	s_barrier                                                  // 0000000099F4: BF8A0000
	ds_read_b64 v[196:197], v26 offset:17408                   // 0000000099F8: D8EC4400 C400001A
	ds_read_b64 v[198:199], v26 offset:17536                   // 000000009A00: D8EC4480 C600001A
	ds_read_b64 v[200:201], v26 offset:17472                   // 000000009A08: D8EC4440 C800001A
	ds_read_b64 v[202:203], v26 offset:17600                   // 000000009A10: D8EC44C0 CA00001A
	s_waitcnt lgkmcnt(0)                                       // 000000009A18: BF8CC07F
	buffer_store_dwordx4 v[196:199], v6, s[40:43], 0 idxen     // 000000009A1C: E07C2000 800AC406
	s_mul_i32 s60, 2, s46                                      // 000000009A24: 923C2E82
	v_add_u32_e32 v6, s60, v6                                  // 000000009A28: 680C0C3C
	buffer_store_dwordx4 v[200:203], v6, s[40:43], 0 idxen     // 000000009A2C: E07C2000 800AC806
	s_mul_i32 s60, 2, s46                                      // 000000009A34: 923C2E82
	v_add_u32_e32 v6, s60, v6                                  // 000000009A38: 680C0C3C
	s_mul_i32 s60, 12, s46                                     // 000000009A3C: 923C2E8C
	v_add_u32_e32 v6, s60, v6                                  // 000000009A40: 680C0C3C
	s_cmp_ge_i32 3, s72                                        // 000000009A44: BF034883
	s_cbranch_scc1 label_1693                                  // 000000009A48: BF850000

0000000000009a4c <label_1693>:
	s_waitcnt vmcnt(0) expcnt(0) lgkmcnt(0)                    // 000000009A4C: BF8C0000
	s_mov_b32 s32, s88                                         // 000000009A50: BEA00058
	s_mov_b32 s33, s89                                         // 000000009A54: BEA10059
	s_sub_i32 s60, s77, 1                                      // 000000009A58: 81BC814D
	s_sub_i32 s2, s60, s2                                      // 000000009A5C: 8182023C
	s_addk_i32 s75, 0x1                                        // 000000009A60: B74B0001
	s_cmp_lt_i32 s75, s76                                      // 000000009A64: BF044C4B
	s_cbranch_scc1 label_00F9                                  // 000000009A68: BF85EA5E
	s_endpgm                                                   // 000000009A6C: BF810000
